;; amdgpu-corpus repo=ROCm/rocFFT kind=compiled arch=gfx906 opt=O3
	.text
	.amdgcn_target "amdgcn-amd-amdhsa--gfx906"
	.amdhsa_code_object_version 6
	.protected	bluestein_single_fwd_len858_dim1_sp_op_CI_CI ; -- Begin function bluestein_single_fwd_len858_dim1_sp_op_CI_CI
	.globl	bluestein_single_fwd_len858_dim1_sp_op_CI_CI
	.p2align	8
	.type	bluestein_single_fwd_len858_dim1_sp_op_CI_CI,@function
bluestein_single_fwd_len858_dim1_sp_op_CI_CI: ; @bluestein_single_fwd_len858_dim1_sp_op_CI_CI
; %bb.0:
	v_mul_u32_u24_e32 v1, 0x349, v0
	s_load_dwordx4 s[0:3], s[4:5], 0x28
	v_lshrrev_b32_e32 v1, 16, v1
	v_mad_u64_u32 v[66:67], s[6:7], s6, 3, v[1:2]
	v_mov_b32_e32 v67, 0
	s_waitcnt lgkmcnt(0)
	v_cmp_gt_u64_e32 vcc, s[0:1], v[66:67]
	s_and_saveexec_b64 s[0:1], vcc
	s_cbranch_execz .LBB0_23
; %bb.1:
	s_mov_b32 s0, 0xaaaaaaab
	v_mul_hi_u32 v2, v66, s0
	v_mul_lo_u16_e32 v1, 0x4e, v1
	s_load_dwordx2 s[12:13], s[4:5], 0x0
	s_load_dwordx2 s[6:7], s[4:5], 0x38
	v_sub_u16_e32 v73, v0, v1
	v_lshrrev_b32_e32 v0, 1, v2
	v_lshl_add_u32 v0, v0, 1, v0
	v_sub_u32_e32 v0, v66, v0
	v_mul_u32_u24_e32 v28, 0x35a, v0
	s_movk_i32 s0, 0x42
	v_cmp_gt_u16_e64 s[0:1], s0, v73
	v_lshlrev_b32_e32 v74, 3, v73
	v_lshlrev_b32_e32 v75, 3, v28
	s_and_saveexec_b64 s[8:9], s[0:1]
	s_cbranch_execz .LBB0_3
; %bb.2:
	s_load_dwordx2 s[10:11], s[4:5], 0x18
	s_waitcnt lgkmcnt(0)
	s_load_dwordx4 s[16:19], s[10:11], 0x0
	s_waitcnt lgkmcnt(0)
	v_mad_u64_u32 v[0:1], s[10:11], s18, v66, 0
	v_mad_u64_u32 v[2:3], s[10:11], s16, v73, 0
	;; [unrolled: 1-line block ×4, first 2 shown]
	v_mov_b32_e32 v1, v4
	v_lshlrev_b64 v[0:1], 3, v[0:1]
	v_mov_b32_e32 v3, v5
	v_mov_b32_e32 v6, s3
	v_lshlrev_b64 v[2:3], 3, v[2:3]
	v_add_co_u32_e32 v0, vcc, s2, v0
	v_addc_co_u32_e32 v1, vcc, v6, v1, vcc
	v_add_co_u32_e32 v0, vcc, v0, v2
	v_addc_co_u32_e32 v1, vcc, v1, v3, vcc
	v_mov_b32_e32 v2, s13
	v_add_co_u32_e32 v37, vcc, s12, v74
	s_mul_i32 s2, s17, 0x210
	s_mul_hi_u32 s3, s16, 0x210
	v_addc_co_u32_e32 v38, vcc, 0, v2, vcc
	s_add_i32 s2, s3, s2
	s_mul_i32 s3, s16, 0x210
	v_mov_b32_e32 v3, s2
	v_add_co_u32_e32 v2, vcc, s3, v0
	v_addc_co_u32_e32 v3, vcc, v1, v3, vcc
	v_mov_b32_e32 v5, s2
	v_add_co_u32_e32 v4, vcc, s3, v2
	v_addc_co_u32_e32 v5, vcc, v3, v5, vcc
	;; [unrolled: 3-line block ×3, first 2 shown]
	global_load_dwordx2 v[8:9], v[0:1], off
	global_load_dwordx2 v[10:11], v[2:3], off
	global_load_dwordx2 v[12:13], v[4:5], off
	global_load_dwordx2 v[14:15], v[6:7], off
	global_load_dwordx2 v[16:17], v74, s[12:13]
	global_load_dwordx2 v[18:19], v74, s[12:13] offset:528
	global_load_dwordx2 v[20:21], v74, s[12:13] offset:1056
	;; [unrolled: 1-line block ×3, first 2 shown]
	v_mov_b32_e32 v1, s2
	v_add_co_u32_e32 v0, vcc, s3, v6
	v_addc_co_u32_e32 v1, vcc, v7, v1, vcc
	global_load_dwordx2 v[2:3], v[0:1], off
	v_mov_b32_e32 v4, s2
	v_add_co_u32_e32 v0, vcc, s3, v0
	v_addc_co_u32_e32 v1, vcc, v1, v4, vcc
	global_load_dwordx2 v[4:5], v[0:1], off
	;; [unrolled: 4-line block ×4, first 2 shown]
	global_load_dwordx2 v[26:27], v74, s[12:13] offset:2112
	global_load_dwordx2 v[29:30], v74, s[12:13] offset:2640
	;; [unrolled: 1-line block ×4, first 2 shown]
	v_mov_b32_e32 v35, s2
	v_add_co_u32_e32 v0, vcc, s3, v0
	v_addc_co_u32_e32 v1, vcc, v1, v35, vcc
	s_movk_i32 s10, 0x1000
	v_add_co_u32_e32 v37, vcc, s10, v37
	v_addc_co_u32_e32 v38, vcc, 0, v38, vcc
	global_load_dwordx2 v[35:36], v[0:1], off
	v_mov_b32_e32 v41, s2
	v_add_co_u32_e32 v0, vcc, s3, v0
	v_addc_co_u32_e32 v1, vcc, v1, v41, vcc
	global_load_dwordx2 v[41:42], v[0:1], off
	v_mov_b32_e32 v43, s2
	v_add_co_u32_e32 v0, vcc, s3, v0
	v_addc_co_u32_e32 v1, vcc, v1, v43, vcc
	global_load_dwordx2 v[39:40], v[37:38], off offset:128
	global_load_dwordx2 v[43:44], v[0:1], off
	global_load_dwordx2 v[45:46], v[37:38], off offset:656
	global_load_dwordx2 v[47:48], v[37:38], off offset:1184
	v_mov_b32_e32 v49, s2
	v_add_co_u32_e32 v0, vcc, s3, v0
	v_addc_co_u32_e32 v1, vcc, v1, v49, vcc
	global_load_dwordx2 v[49:50], v[0:1], off
	global_load_dwordx2 v[51:52], v[37:38], off offset:1712
	v_mov_b32_e32 v53, s2
	v_add_co_u32_e32 v0, vcc, s3, v0
	v_addc_co_u32_e32 v1, vcc, v1, v53, vcc
	global_load_dwordx2 v[53:54], v[0:1], off
	global_load_dwordx2 v[55:56], v[37:38], off offset:2240
	v_lshl_add_u32 v37, v73, 3, v75
	s_waitcnt vmcnt(21)
	v_mul_f32_e32 v0, v9, v17
	v_mul_f32_e32 v1, v8, v17
	v_fmac_f32_e32 v0, v8, v16
	v_fma_f32 v1, v9, v16, -v1
	ds_write_b64 v37, v[0:1]
	s_waitcnt vmcnt(20)
	v_mul_f32_e32 v0, v11, v19
	v_mul_f32_e32 v1, v10, v19
	s_waitcnt vmcnt(19)
	v_mul_f32_e32 v8, v13, v21
	v_mul_f32_e32 v9, v12, v21
	v_fmac_f32_e32 v0, v10, v18
	v_add_u32_e32 v16, v75, v74
	v_fma_f32 v1, v11, v18, -v1
	v_fmac_f32_e32 v8, v12, v20
	v_fma_f32 v9, v13, v20, -v9
	ds_write2_b64 v16, v[0:1], v[8:9] offset0:66 offset1:132
	s_waitcnt vmcnt(18)
	v_mul_f32_e32 v0, v15, v23
	v_mul_f32_e32 v1, v14, v23
	v_fmac_f32_e32 v0, v14, v22
	v_fma_f32 v1, v15, v22, -v1
	s_waitcnt vmcnt(13)
	v_mul_f32_e32 v8, v3, v27
	v_fmac_f32_e32 v8, v2, v26
	v_mul_f32_e32 v2, v2, v27
	v_fma_f32 v9, v3, v26, -v2
	v_add_u32_e32 v2, 0x400, v16
	ds_write2_b64 v2, v[0:1], v[8:9] offset0:70 offset1:136
	s_waitcnt vmcnt(12)
	v_mul_f32_e32 v0, v5, v30
	v_mul_f32_e32 v1, v4, v30
	s_waitcnt vmcnt(11)
	v_mul_f32_e32 v2, v7, v32
	v_mul_f32_e32 v3, v6, v32
	v_fmac_f32_e32 v0, v4, v29
	v_fma_f32 v1, v5, v29, -v1
	v_fmac_f32_e32 v2, v6, v31
	v_fma_f32 v3, v7, v31, -v3
	v_add_u32_e32 v4, 0x800, v16
	ds_write2_b64 v4, v[0:1], v[2:3] offset0:74 offset1:140
	s_waitcnt vmcnt(10)
	v_mul_f32_e32 v0, v25, v34
	v_mul_f32_e32 v1, v24, v34
	v_fmac_f32_e32 v0, v24, v33
	v_fma_f32 v1, v25, v33, -v1
	v_add_u32_e32 v4, 0xc00, v16
	s_waitcnt vmcnt(7)
	v_mul_f32_e32 v2, v36, v40
	v_mul_f32_e32 v3, v35, v40
	v_fmac_f32_e32 v2, v35, v39
	v_fma_f32 v3, v36, v39, -v3
	ds_write2_b64 v4, v[0:1], v[2:3] offset0:78 offset1:144
	s_waitcnt vmcnt(5)
	v_mul_f32_e32 v0, v42, v46
	v_mul_f32_e32 v1, v41, v46
	s_waitcnt vmcnt(4)
	v_mul_f32_e32 v2, v44, v48
	v_mul_f32_e32 v3, v43, v48
	v_fmac_f32_e32 v0, v41, v45
	v_fma_f32 v1, v42, v45, -v1
	v_fmac_f32_e32 v2, v43, v47
	v_fma_f32 v3, v44, v47, -v3
	v_add_u32_e32 v4, 0x1000, v16
	ds_write2_b64 v4, v[0:1], v[2:3] offset0:82 offset1:148
	s_waitcnt vmcnt(2)
	v_mul_f32_e32 v0, v50, v52
	v_mul_f32_e32 v1, v49, v52
	s_waitcnt vmcnt(0)
	v_mul_f32_e32 v2, v54, v56
	v_mul_f32_e32 v3, v53, v56
	v_fmac_f32_e32 v0, v49, v51
	v_fma_f32 v1, v50, v51, -v1
	v_fmac_f32_e32 v2, v53, v55
	v_fma_f32 v3, v54, v55, -v3
	v_add_u32_e32 v4, 0x1400, v16
	ds_write2_b64 v4, v[0:1], v[2:3] offset0:86 offset1:152
.LBB0_3:
	s_or_b64 exec, exec, s[8:9]
	s_load_dwordx2 s[2:3], s[4:5], 0x20
	s_load_dwordx2 s[14:15], s[4:5], 0x8
	v_mov_b32_e32 v0, 0
	v_mov_b32_e32 v1, 0
	s_waitcnt lgkmcnt(0)
	s_barrier
	s_waitcnt lgkmcnt(0)
                                        ; implicit-def: $vgpr6
                                        ; implicit-def: $vgpr12
                                        ; implicit-def: $vgpr20
                                        ; implicit-def: $vgpr24
                                        ; implicit-def: $vgpr18
                                        ; implicit-def: $vgpr10
	s_and_saveexec_b64 s[4:5], s[0:1]
	s_cbranch_execz .LBB0_5
; %bb.4:
	v_lshl_add_u32 v24, v28, 3, v74
	v_add_u32_e32 v4, 0x800, v24
	v_add_u32_e32 v20, 0x1000, v24
	ds_read2_b64 v[0:3], v24 offset1:66
	ds_read2_b64 v[8:11], v24 offset0:132 offset1:198
	ds_read2_b64 v[16:19], v4 offset0:8 offset1:74
	;; [unrolled: 1-line block ×5, first 2 shown]
	ds_read_b64 v[24:25], v24 offset:6336
.LBB0_5:
	s_or_b64 exec, exec, s[4:5]
	s_waitcnt lgkmcnt(0)
	v_sub_f32_e32 v56, v3, v25
	v_mul_f32_e32 v41, 0xbeedf032, v56
	v_add_f32_e32 v26, v24, v2
	v_sub_f32_e32 v62, v2, v24
	v_mov_b32_e32 v29, v41
	v_add_f32_e32 v27, v25, v3
	s_mov_b32 s8, 0x3f62ad3f
	v_mul_f32_e32 v43, 0xbeedf032, v62
	v_fmac_f32_e32 v29, 0x3f62ad3f, v26
	v_add_f32_e32 v31, v29, v0
	v_fma_f32 v29, v27, s8, -v43
	v_mul_f32_e32 v48, 0xbf52af12, v56
	v_add_f32_e32 v32, v29, v1
	v_mov_b32_e32 v29, v48
	s_mov_b32 s9, 0x3f116cb1
	v_mul_f32_e32 v52, 0xbf52af12, v62
	v_fmac_f32_e32 v29, 0x3f116cb1, v26
	v_sub_f32_e32 v60, v9, v23
	v_add_f32_e32 v33, v29, v0
	v_fma_f32 v29, v27, s9, -v52
	v_mul_f32_e32 v42, 0xbf52af12, v60
	v_add_f32_e32 v34, v29, v1
	v_add_f32_e32 v29, v22, v8
	v_sub_f32_e32 v69, v8, v22
	v_mov_b32_e32 v35, v42
	v_add_f32_e32 v30, v23, v9
	v_mul_f32_e32 v45, 0xbf52af12, v69
	v_fmac_f32_e32 v35, 0x3f116cb1, v29
	v_add_f32_e32 v35, v35, v31
	v_fma_f32 v31, v30, s9, -v45
	v_mul_f32_e32 v51, 0xbf6f5d39, v60
	v_add_f32_e32 v36, v31, v32
	v_mov_b32_e32 v31, v51
	s_mov_b32 s10, 0xbeb58ec6
	v_mul_f32_e32 v57, 0xbf6f5d39, v69
	v_fmac_f32_e32 v31, 0xbeb58ec6, v29
	v_sub_f32_e32 v64, v11, v21
	v_add_f32_e32 v33, v31, v33
	v_fma_f32 v31, v30, s10, -v57
	v_mul_f32_e32 v44, 0xbf7e222b, v64
	v_add_f32_e32 v34, v31, v34
	v_add_f32_e32 v31, v20, v10
	v_sub_f32_e32 v77, v10, v20
	v_mov_b32_e32 v37, v44
	v_add_f32_e32 v32, v21, v11
	s_mov_b32 s11, 0x3df6dbef
	v_mul_f32_e32 v47, 0xbf7e222b, v77
	v_fmac_f32_e32 v37, 0x3df6dbef, v31
	v_add_f32_e32 v37, v37, v35
	v_fma_f32 v35, v32, s11, -v47
	v_mul_f32_e32 v55, 0xbe750f2a, v64
	v_add_f32_e32 v36, v35, v36
	v_mov_b32_e32 v35, v55
	s_mov_b32 s16, 0xbf788fa5
	v_mul_f32_e32 v61, 0xbe750f2a, v77
	v_fmac_f32_e32 v35, 0xbf788fa5, v31
	v_sub_f32_e32 v71, v17, v15
	v_add_f32_e32 v38, v35, v33
	v_fma_f32 v33, v32, s16, -v61
	v_mul_f32_e32 v46, 0xbf6f5d39, v71
	v_add_f32_e32 v34, v33, v34
	v_add_f32_e32 v33, v14, v16
	v_sub_f32_e32 v80, v16, v14
	v_mov_b32_e32 v39, v46
	v_add_f32_e32 v35, v15, v17
	v_mul_f32_e32 v50, 0xbf6f5d39, v80
	v_fmac_f32_e32 v39, 0xbeb58ec6, v33
	v_add_f32_e32 v39, v39, v37
	v_fma_f32 v37, v35, s10, -v50
	v_mul_f32_e32 v59, 0x3f29c268, v71
	v_add_f32_e32 v36, v37, v36
	v_mov_b32_e32 v37, v59
	s_mov_b32 s17, 0xbf3f9e67
	v_mul_f32_e32 v65, 0x3f29c268, v80
	v_fmac_f32_e32 v37, 0xbf3f9e67, v33
	v_sub_f32_e32 v79, v19, v13
	v_add_f32_e32 v38, v37, v38
	v_fma_f32 v37, v35, s17, -v65
	v_mul_f32_e32 v49, 0xbf29c268, v79
	v_add_f32_e32 v40, v37, v34
	v_add_f32_e32 v34, v12, v18
	v_sub_f32_e32 v83, v18, v12
	v_mov_b32_e32 v53, v49
	v_add_f32_e32 v37, v13, v19
	v_mul_f32_e32 v54, 0xbf29c268, v83
	v_fmac_f32_e32 v53, 0xbf3f9e67, v34
	v_add_f32_e32 v39, v53, v39
	v_fma_f32 v53, v37, s17, -v54
	v_mul_f32_e32 v63, 0x3f7e222b, v79
	v_add_f32_e32 v68, v53, v36
	v_mov_b32_e32 v36, v63
	v_mul_f32_e32 v72, 0x3f7e222b, v83
	v_fmac_f32_e32 v36, 0x3df6dbef, v34
	v_sub_f32_e32 v81, v5, v7
	v_add_f32_e32 v38, v36, v38
	v_fma_f32 v36, v37, s11, -v72
	v_mul_f32_e32 v53, 0xbe750f2a, v81
	v_add_f32_e32 v76, v36, v40
	v_add_f32_e32 v36, v6, v4
	v_sub_f32_e32 v82, v4, v6
	v_mov_b32_e32 v67, v53
	v_add_f32_e32 v40, v7, v5
	v_mul_f32_e32 v58, 0xbe750f2a, v82
	v_fmac_f32_e32 v67, 0xbf788fa5, v36
	v_add_f32_e32 v67, v67, v39
	v_fma_f32 v39, v40, s16, -v58
	v_mul_f32_e32 v70, 0x3eedf032, v81
	v_add_f32_e32 v68, v39, v68
	v_mul_f32_e32 v78, 0x3eedf032, v82
	v_mov_b32_e32 v39, v70
	v_fmac_f32_e32 v39, 0x3f62ad3f, v36
	v_fma_f32 v84, v40, s8, -v78
	v_add_f32_e32 v38, v39, v38
	v_add_f32_e32 v39, v84, v76
	v_mul_lo_u16_e32 v76, 13, v73
	s_barrier
	s_and_saveexec_b64 s[4:5], s[0:1]
	s_cbranch_execz .LBB0_7
; %bb.6:
	v_mul_f32_e32 v90, 0xbe750f2a, v62
	v_mov_b32_e32 v84, v90
	v_mul_f32_e32 v91, 0x3eedf032, v69
	v_fmac_f32_e32 v84, 0xbf788fa5, v27
	v_mov_b32_e32 v85, v91
	v_add_f32_e32 v84, v84, v1
	v_fmac_f32_e32 v85, 0x3f62ad3f, v30
	v_mul_f32_e32 v92, 0xbf29c268, v77
	v_add_f32_e32 v84, v85, v84
	v_mov_b32_e32 v85, v92
	v_fmac_f32_e32 v85, 0xbf3f9e67, v32
	v_mul_f32_e32 v93, 0x3f52af12, v80
	v_add_f32_e32 v84, v85, v84
	v_mov_b32_e32 v85, v93
	;; [unrolled: 4-line block ×4, first 2 shown]
	v_fmac_f32_e32 v85, 0x3df6dbef, v40
	v_mul_f32_e32 v96, 0xbe750f2a, v56
	v_add_f32_e32 v85, v85, v84
	v_fma_f32 v84, v26, s16, -v96
	v_mul_f32_e32 v97, 0x3eedf032, v60
	v_add_f32_e32 v84, v84, v0
	v_fma_f32 v86, v29, s8, -v97
	;; [unrolled: 3-line block ×6, first 2 shown]
	v_mul_f32_e32 v102, 0xbf29c268, v62
	v_add_f32_e32 v84, v86, v84
	v_mov_b32_e32 v86, v102
	v_mul_f32_e32 v103, 0x3f7e222b, v69
	v_fmac_f32_e32 v86, 0xbf3f9e67, v27
	v_mov_b32_e32 v87, v103
	v_add_f32_e32 v86, v86, v1
	v_fmac_f32_e32 v87, 0x3df6dbef, v30
	v_mul_f32_e32 v104, 0xbf52af12, v77
	v_add_f32_e32 v86, v87, v86
	v_mov_b32_e32 v87, v104
	v_fmac_f32_e32 v87, 0x3f116cb1, v32
	v_mul_f32_e32 v105, 0x3e750f2a, v80
	v_add_f32_e32 v86, v87, v86
	v_mov_b32_e32 v87, v105
	;; [unrolled: 4-line block ×4, first 2 shown]
	v_fmac_f32_e32 v87, 0xbeb58ec6, v40
	v_mul_f32_e32 v108, 0xbf29c268, v56
	v_add_f32_e32 v87, v87, v86
	v_fma_f32 v86, v26, s17, -v108
	v_mul_f32_e32 v109, 0x3f7e222b, v60
	v_add_f32_e32 v86, v86, v0
	v_fma_f32 v88, v29, s11, -v109
	;; [unrolled: 3-line block ×6, first 2 shown]
	v_mul_f32_e32 v114, 0xbf6f5d39, v62
	v_add_f32_e32 v86, v88, v86
	v_mov_b32_e32 v88, v114
	v_mul_f32_e32 v115, 0x3f29c268, v69
	v_fmac_f32_e32 v88, 0xbeb58ec6, v27
	v_mov_b32_e32 v89, v115
	v_add_f32_e32 v88, v88, v1
	v_fmac_f32_e32 v89, 0xbf3f9e67, v30
	v_mul_f32_e32 v116, 0x3eedf032, v77
	v_add_f32_e32 v88, v89, v88
	v_mov_b32_e32 v89, v116
	v_fmac_f32_e32 v89, 0x3f62ad3f, v32
	v_mul_f32_e32 v117, 0xbf7e222b, v80
	v_add_f32_e32 v88, v89, v88
	v_mov_b32_e32 v89, v117
	;; [unrolled: 4-line block ×3, first 2 shown]
	v_fmac_f32_e32 v89, 0xbf788fa5, v37
	v_mul_f32_e32 v119, 0xbf6f5d39, v56
	v_add_f32_e32 v88, v89, v88
	v_fma_f32 v89, v26, s10, -v119
	v_mul_f32_e32 v120, 0x3f29c268, v60
	v_add_f32_e32 v89, v89, v0
	v_fma_f32 v121, v29, s17, -v120
	v_add_f32_e32 v89, v121, v89
	v_mul_f32_e32 v121, 0x3eedf032, v64
	v_fma_f32 v122, v31, s8, -v121
	v_add_f32_e32 v89, v122, v89
	v_mul_f32_e32 v122, 0xbf7e222b, v71
	;; [unrolled: 3-line block ×3, first 2 shown]
	v_fma_f32 v124, v34, s16, -v123
	v_mul_f32_e32 v125, 0x3f52af12, v82
	v_add_f32_e32 v124, v124, v89
	v_mov_b32_e32 v89, v125
	v_fmac_f32_e32 v89, 0x3f116cb1, v40
	v_mul_f32_e32 v126, 0x3f52af12, v81
	v_add_f32_e32 v89, v89, v88
	v_fma_f32 v88, v36, s9, -v126
	v_mul_f32_e32 v62, 0xbf7e222b, v62
	v_add_f32_e32 v88, v88, v124
	v_mov_b32_e32 v124, v62
	v_mul_f32_e32 v69, 0xbe750f2a, v69
	v_fmac_f32_e32 v124, 0x3df6dbef, v27
	v_mov_b32_e32 v127, v69
	v_add_f32_e32 v124, v124, v1
	v_fmac_f32_e32 v127, 0xbf788fa5, v30
	v_mul_f32_e32 v77, 0x3f6f5d39, v77
	v_add_f32_e32 v124, v127, v124
	v_mov_b32_e32 v127, v77
	v_fmac_f32_e32 v127, 0xbeb58ec6, v32
	v_add_f32_e32 v124, v127, v124
	v_mul_f32_e32 v127, 0x3eedf032, v80
	v_mov_b32_e32 v80, v127
	v_fmac_f32_e32 v80, 0x3f62ad3f, v35
	v_mul_f32_e32 v83, 0xbf52af12, v83
	v_add_f32_e32 v80, v80, v124
	v_mov_b32_e32 v124, v83
	v_fmac_f32_e32 v124, 0x3f116cb1, v37
	v_mul_f32_e32 v56, 0xbf7e222b, v56
	v_add_f32_e32 v80, v124, v80
	v_fma_f32 v124, v26, s11, -v56
	v_mul_f32_e32 v60, 0xbe750f2a, v60
	v_add_f32_e32 v124, v124, v0
	v_fma_f32 v128, v29, s16, -v60
	;; [unrolled: 3-line block ×4, first 2 shown]
	v_add_f32_e32 v124, v128, v124
	v_mul_f32_e32 v128, 0xbf52af12, v79
	v_fma_f32 v79, v34, s9, -v128
	v_mul_f32_e32 v82, 0xbf29c268, v82
	v_add_f32_e32 v79, v79, v124
	v_mov_b32_e32 v124, v82
	v_fmac_f32_e32 v124, 0xbf3f9e67, v40
	v_mul_f32_e32 v81, 0xbf29c268, v81
	v_add_f32_e32 v80, v124, v80
	v_fma_f32 v124, v36, s17, -v81
	v_add_f32_e32 v79, v124, v79
	v_mul_f32_e32 v124, 0x3f116cb1, v27
	v_add_f32_e32 v52, v52, v124
	v_mul_f32_e32 v124, 0xbeb58ec6, v30
	v_add_f32_e32 v57, v57, v124
	v_add_f32_e32 v52, v52, v1
	;; [unrolled: 1-line block ×3, first 2 shown]
	v_mul_f32_e32 v57, 0xbf788fa5, v32
	v_add_f32_e32 v57, v61, v57
	v_mul_f32_e32 v61, 0x3f116cb1, v26
	v_sub_f32_e32 v48, v61, v48
	v_mul_f32_e32 v61, 0xbeb58ec6, v29
	v_sub_f32_e32 v51, v61, v51
	v_add_f32_e32 v48, v48, v0
	v_add_f32_e32 v48, v51, v48
	v_mul_f32_e32 v51, 0xbf788fa5, v31
	v_sub_f32_e32 v51, v51, v55
	v_add_f32_e32 v48, v51, v48
	v_mul_f32_e32 v51, 0xbf3f9e67, v33
	v_sub_f32_e32 v51, v51, v59
	v_add_f32_e32 v48, v51, v48
	v_mul_f32_e32 v51, 0x3df6dbef, v34
	v_add_f32_e32 v2, v2, v0
	v_sub_f32_e32 v51, v51, v63
	v_add_f32_e32 v3, v3, v1
	v_add_f32_e32 v2, v8, v2
	;; [unrolled: 1-line block ×3, first 2 shown]
	v_mul_f32_e32 v51, 0x3f62ad3f, v36
	v_add_f32_e32 v3, v9, v3
	v_add_f32_e32 v2, v10, v2
	v_sub_f32_e32 v51, v51, v70
	v_add_f32_e32 v3, v11, v3
	v_add_f32_e32 v2, v16, v2
	v_add_f32_e32 v51, v51, v48
	v_mul_f32_e32 v48, 0x3f62ad3f, v27
	v_add_f32_e32 v3, v17, v3
	v_add_f32_e32 v2, v18, v2
	v_add_f32_e32 v43, v43, v48
	v_mul_f32_e32 v48, 0x3f116cb1, v30
	v_add_f32_e32 v3, v19, v3
	v_add_f32_e32 v2, v4, v2
	;; [unrolled: 1-line block ×6, first 2 shown]
	v_fma_f32 v4, v27, s16, -v90
	v_fma_f32 v6, v27, s17, -v102
	;; [unrolled: 1-line block ×3, first 2 shown]
	v_add_f32_e32 v43, v45, v43
	v_mul_f32_e32 v45, 0x3df6dbef, v32
	v_add_f32_e32 v3, v7, v3
	v_add_f32_e32 v4, v4, v1
	v_fma_f32 v5, v30, s8, -v91
	v_add_f32_e32 v6, v6, v1
	v_fma_f32 v7, v30, s11, -v103
	;; [unrolled: 2-line block ×3, first 2 shown]
	v_add_f32_e32 v45, v47, v45
	v_add_f32_e32 v4, v5, v4
	v_fma_f32 v5, v32, s17, -v92
	v_add_f32_e32 v6, v7, v6
	v_fma_f32 v7, v32, s9, -v104
	;; [unrolled: 2-line block ×3, first 2 shown]
	v_mul_f32_e32 v48, 0x3f62ad3f, v26
	v_add_f32_e32 v43, v45, v43
	v_mul_f32_e32 v45, 0xbeb58ec6, v35
	v_add_f32_e32 v4, v5, v4
	v_fma_f32 v5, v35, s9, -v93
	v_add_f32_e32 v6, v7, v6
	v_fma_f32 v7, v35, s16, -v105
	;; [unrolled: 2-line block ×3, first 2 shown]
	v_mul_f32_e32 v47, 0x3f116cb1, v29
	v_add_f32_e32 v45, v50, v45
	v_sub_f32_e32 v41, v48, v41
	v_add_f32_e32 v4, v5, v4
	v_fma_f32 v5, v37, s10, -v94
	v_add_f32_e32 v6, v7, v6
	v_fma_f32 v7, v37, s8, -v106
	;; [unrolled: 2-line block ×3, first 2 shown]
	v_fma_f32 v10, v27, s11, -v62
	v_add_f32_e32 v52, v57, v52
	v_mul_f32_e32 v57, 0xbf3f9e67, v35
	v_mul_f32_e32 v50, 0x3df6dbef, v31
	v_add_f32_e32 v43, v45, v43
	v_mul_f32_e32 v45, 0xbf3f9e67, v37
	v_add_f32_e32 v41, v41, v0
	v_sub_f32_e32 v42, v47, v42
	v_add_f32_e32 v4, v5, v4
	v_fma_f32 v5, v40, s11, -v95
	v_fmac_f32_e32 v96, 0xbf788fa5, v26
	v_add_f32_e32 v6, v7, v6
	v_fma_f32 v7, v40, s10, -v107
	v_fmac_f32_e32 v108, 0xbf3f9e67, v26
	;; [unrolled: 3-line block ×4, first 2 shown]
	v_add_f32_e32 v57, v65, v57
	v_add_f32_e32 v45, v54, v45
	v_mul_f32_e32 v54, 0xbeb58ec6, v33
	v_add_f32_e32 v41, v42, v41
	v_sub_f32_e32 v42, v50, v44
	v_add_f32_e32 v3, v13, v3
	v_add_f32_e32 v2, v12, v2
	;; [unrolled: 1-line block ×4, first 2 shown]
	v_fmac_f32_e32 v97, 0x3f62ad3f, v29
	v_add_f32_e32 v7, v7, v6
	v_add_f32_e32 v6, v108, v0
	v_fmac_f32_e32 v109, 0x3df6dbef, v29
	v_add_f32_e32 v9, v9, v8
	v_add_f32_e32 v8, v119, v0
	v_fmac_f32_e32 v120, 0xbf3f9e67, v29
	v_add_f32_e32 v1, v10, v1
	v_fma_f32 v10, v32, s10, -v77
	v_add_f32_e32 v0, v56, v0
	v_fmac_f32_e32 v60, 0xbf788fa5, v29
	v_add_f32_e32 v52, v57, v52
	v_mul_f32_e32 v57, 0x3df6dbef, v37
	v_mul_f32_e32 v55, 0xbf3f9e67, v34
	v_add_f32_e32 v41, v42, v41
	v_sub_f32_e32 v42, v54, v46
	v_add_f32_e32 v3, v15, v3
	v_add_f32_e32 v2, v14, v2
	;; [unrolled: 1-line block ×3, first 2 shown]
	v_fmac_f32_e32 v98, 0xbf3f9e67, v31
	v_add_f32_e32 v6, v109, v6
	v_fmac_f32_e32 v110, 0x3f116cb1, v31
	v_add_f32_e32 v8, v120, v8
	;; [unrolled: 2-line block ×3, first 2 shown]
	v_fma_f32 v10, v35, s8, -v127
	v_add_f32_e32 v0, v60, v0
	v_fmac_f32_e32 v64, 0xbeb58ec6, v31
	v_add_f32_e32 v57, v72, v57
	v_add_f32_e32 v43, v45, v43
	v_mul_f32_e32 v45, 0xbf788fa5, v40
	v_mul_f32_e32 v48, 0xbf788fa5, v36
	v_add_f32_e32 v41, v42, v41
	v_sub_f32_e32 v42, v55, v49
	v_add_f32_e32 v3, v21, v3
	v_add_f32_e32 v2, v20, v2
	v_add_f32_e32 v4, v98, v4
	v_fmac_f32_e32 v99, 0x3f116cb1, v33
	v_add_f32_e32 v6, v110, v6
	v_fmac_f32_e32 v111, 0xbf788fa5, v33
	v_add_f32_e32 v8, v121, v8
	;; [unrolled: 2-line block ×3, first 2 shown]
	v_fma_f32 v10, v37, s9, -v83
	v_add_f32_e32 v0, v64, v0
	v_fmac_f32_e32 v71, 0x3f62ad3f, v33
	v_add_f32_e32 v52, v57, v52
	v_mul_f32_e32 v57, 0x3f62ad3f, v40
	v_add_f32_e32 v45, v58, v45
	v_add_f32_e32 v41, v42, v41
	v_sub_f32_e32 v42, v48, v53
	v_add_f32_e32 v3, v23, v3
	v_add_f32_e32 v2, v22, v2
	;; [unrolled: 1-line block ×3, first 2 shown]
	v_fmac_f32_e32 v100, 0xbeb58ec6, v34
	v_add_f32_e32 v6, v111, v6
	v_fmac_f32_e32 v112, 0x3f62ad3f, v34
	v_add_f32_e32 v8, v122, v8
	;; [unrolled: 2-line block ×3, first 2 shown]
	v_fma_f32 v10, v40, s17, -v82
	v_add_f32_e32 v0, v71, v0
	v_fmac_f32_e32 v128, 0x3f116cb1, v34
	v_add_f32_e32 v57, v78, v57
	v_add_f32_e32 v43, v45, v43
	;; [unrolled: 1-line block ×6, first 2 shown]
	v_fmac_f32_e32 v101, 0x3df6dbef, v36
	v_add_f32_e32 v6, v112, v6
	v_fmac_f32_e32 v113, 0xbeb58ec6, v36
	v_add_f32_e32 v8, v123, v8
	;; [unrolled: 2-line block ×3, first 2 shown]
	v_add_f32_e32 v0, v128, v0
	v_fmac_f32_e32 v81, 0xbf3f9e67, v36
	v_add_lshl_u32 v10, v28, v76, 3
	v_add_f32_e32 v52, v57, v52
	v_add_f32_e32 v4, v101, v4
	v_add_f32_e32 v6, v113, v6
	v_add_f32_e32 v8, v126, v8
	v_add_f32_e32 v0, v81, v0
	ds_write2_b64 v10, v[2:3], v[42:43] offset1:1
	ds_write2_b64 v10, v[51:52], v[79:80] offset0:2 offset1:3
	ds_write2_b64 v10, v[88:89], v[86:87] offset0:4 offset1:5
	;; [unrolled: 1-line block ×5, first 2 shown]
	ds_write_b64 v10, v[67:68] offset:96
.LBB0_7:
	s_or_b64 exec, exec, s[4:5]
	s_load_dwordx4 s[8:11], s[2:3], 0x0
	s_movk_i32 s2, 0x4f
	v_mul_lo_u16_sdwa v0, v73, s2 dst_sel:DWORD dst_unused:UNUSED_PAD src0_sel:BYTE_0 src1_sel:DWORD
	v_lshrrev_b16_e32 v3, 10, v0
	v_mul_lo_u16_e32 v0, 13, v3
	v_sub_u16_e32 v48, v73, v0
	v_mov_b32_e32 v0, 10
	v_mul_u32_u24_sdwa v0, v48, v0 dst_sel:DWORD dst_unused:UNUSED_PAD src0_sel:BYTE_0 src1_sel:DWORD
	v_lshlrev_b32_e32 v0, 3, v0
	s_waitcnt lgkmcnt(0)
	s_barrier
	global_load_dwordx4 v[20:23], v0, s[14:15]
	global_load_dwordx4 v[16:19], v0, s[14:15] offset:16
	global_load_dwordx4 v[12:15], v0, s[14:15] offset:32
	;; [unrolled: 1-line block ×4, first 2 shown]
	v_add_lshl_u32 v77, v28, v73, 3
	ds_read2_b64 v[8:11], v77 offset1:78
	ds_read2_b64 v[29:32], v77 offset0:156 offset1:234
	v_add_u32_e32 v0, 0x800, v77
	v_add_u32_e32 v37, 0xc00, v77
	;; [unrolled: 1-line block ×3, first 2 shown]
	ds_read_b64 v[1:2], v77 offset:6240
	ds_read2_b64 v[33:36], v0 offset0:56 offset1:134
	ds_read2_b64 v[40:43], v37 offset0:84 offset1:162
	;; [unrolled: 1-line block ×3, first 2 shown]
	s_mov_b32 s2, 0x3f575c64
	s_mov_b32 s3, 0x3ed4b147
	;; [unrolled: 1-line block ×5, first 2 shown]
	v_mul_u32_u24_e32 v3, 0x8f, v3
	v_add_u32_sdwa v3, v3, v48 dst_sel:DWORD dst_unused:UNUSED_PAD src0_sel:DWORD src1_sel:BYTE_0
	v_add_lshl_u32 v78, v28, v3, 3
	s_waitcnt vmcnt(0) lgkmcnt(0)
	s_barrier
	v_mul_f32_e32 v37, v11, v21
	v_mul_f32_e32 v50, v10, v21
	;; [unrolled: 1-line block ×6, first 2 shown]
	v_fma_f32 v10, v10, v20, -v37
	v_fmac_f32_e32 v50, v11, v20
	v_mul_f32_e32 v53, v32, v17
	v_mul_f32_e32 v54, v31, v17
	;; [unrolled: 1-line block ×4, first 2 shown]
	v_fma_f32 v11, v29, v22, -v51
	v_fmac_f32_e32 v52, v30, v22
	v_fmac_f32_e32 v58, v36, v12
	;; [unrolled: 1-line block ×3, first 2 shown]
	v_add_f32_e32 v2, v8, v10
	v_add_f32_e32 v36, v9, v50
	v_mul_f32_e32 v55, v34, v19
	v_mul_f32_e32 v56, v33, v19
	v_fma_f32 v29, v31, v16, -v53
	v_fmac_f32_e32 v54, v32, v16
	v_add_f32_e32 v2, v2, v11
	v_add_f32_e32 v36, v36, v52
	v_fma_f32 v30, v33, v18, -v55
	v_fmac_f32_e32 v56, v34, v18
	v_add_f32_e32 v2, v2, v29
	v_add_f32_e32 v36, v36, v54
	v_mul_f32_e32 v59, v41, v15
	v_mul_f32_e32 v60, v40, v15
	v_fma_f32 v31, v35, v12, -v57
	v_add_f32_e32 v2, v2, v30
	v_add_f32_e32 v36, v36, v56
	v_mul_f32_e32 v61, v43, v5
	v_mul_f32_e32 v62, v42, v5
	v_fma_f32 v32, v40, v14, -v59
	v_fmac_f32_e32 v60, v41, v14
	v_add_f32_e32 v2, v2, v31
	v_add_f32_e32 v36, v36, v58
	v_mul_f32_e32 v63, v45, v7
	v_mul_f32_e32 v64, v44, v7
	v_fma_f32 v33, v42, v4, -v61
	v_fmac_f32_e32 v62, v43, v4
	;; [unrolled: 6-line block ×3, first 2 shown]
	v_fma_f32 v1, v1, v26, -v70
	v_add_f32_e32 v2, v2, v33
	v_add_f32_e32 v36, v36, v62
	v_fma_f32 v35, v46, v24, -v65
	v_fmac_f32_e32 v69, v47, v24
	v_add_f32_e32 v37, v10, v1
	v_sub_f32_e32 v10, v10, v1
	v_sub_f32_e32 v41, v50, v71
	v_add_f32_e32 v2, v2, v34
	v_add_f32_e32 v36, v36, v64
	v_mul_f32_e32 v42, 0xbf0a6770, v41
	v_mul_f32_e32 v43, 0xbf0a6770, v10
	v_add_f32_e32 v2, v2, v35
	v_add_f32_e32 v36, v36, v69
	v_mul_f32_e32 v47, 0xbf68dda4, v10
	v_mul_f32_e32 v55, 0xbf7d64f0, v10
	;; [unrolled: 1-line block ×4, first 2 shown]
	v_add_f32_e32 v40, v50, v71
	v_fma_f32 v44, v37, s2, -v42
	v_mov_b32_e32 v45, v43
	v_add_f32_e32 v1, v2, v1
	v_add_f32_e32 v2, v36, v71
	v_fmac_f32_e32 v42, 0x3f575c64, v37
	v_mov_b32_e32 v50, v47
	v_mov_b32_e32 v57, v55
	;; [unrolled: 1-line block ×4, first 2 shown]
	v_fmac_f32_e32 v45, 0x3f575c64, v40
	v_add_f32_e32 v36, v8, v42
	v_fma_f32 v42, v40, s2, -v43
	v_fmac_f32_e32 v50, 0x3ed4b147, v40
	v_fma_f32 v47, v40, s3, -v47
	v_fmac_f32_e32 v57, 0xbe11bafb, v40
	;; [unrolled: 2-line block ×4, first 2 shown]
	v_fma_f32 v10, v40, s16, -v10
	v_add_f32_e32 v45, v9, v45
	v_add_f32_e32 v42, v9, v42
	v_mul_f32_e32 v43, 0xbf68dda4, v41
	v_add_f32_e32 v50, v9, v50
	v_add_f32_e32 v47, v9, v47
	v_mul_f32_e32 v51, 0xbf7d64f0, v41
	;; [unrolled: 3-line block ×4, first 2 shown]
	v_add_f32_e32 v71, v9, v71
	v_add_f32_e32 v9, v9, v10
	;; [unrolled: 1-line block ×3, first 2 shown]
	v_sub_f32_e32 v11, v11, v35
	v_sub_f32_e32 v35, v52, v69
	v_fma_f32 v46, v37, s3, -v43
	v_fmac_f32_e32 v43, 0x3ed4b147, v37
	v_fma_f32 v53, v37, s4, -v51
	v_fmac_f32_e32 v51, 0xbe11bafb, v37
	;; [unrolled: 2-line block ×4, first 2 shown]
	v_mul_f32_e32 v40, 0xbf68dda4, v35
	v_add_f32_e32 v44, v8, v44
	v_add_f32_e32 v46, v8, v46
	;; [unrolled: 1-line block ×9, first 2 shown]
	v_fma_f32 v41, v10, s3, -v40
	v_add_f32_e32 v37, v52, v69
	v_add_f32_e32 v41, v41, v44
	v_mul_f32_e32 v44, 0xbf68dda4, v11
	v_fmac_f32_e32 v40, 0x3ed4b147, v10
	v_add_f32_e32 v36, v40, v36
	v_fma_f32 v40, v37, s3, -v44
	v_add_f32_e32 v40, v40, v42
	v_mul_f32_e32 v42, 0xbf4178ce, v35
	v_mov_b32_e32 v52, v44
	v_fma_f32 v44, v10, s5, -v42
	v_fmac_f32_e32 v52, 0x3ed4b147, v37
	v_add_f32_e32 v44, v44, v46
	v_mul_f32_e32 v46, 0xbf4178ce, v11
	v_add_f32_e32 v45, v52, v45
	v_mov_b32_e32 v52, v46
	v_fmac_f32_e32 v42, 0xbf27a4f4, v10
	v_fmac_f32_e32 v52, 0xbf27a4f4, v37
	v_add_f32_e32 v42, v42, v43
	v_fma_f32 v43, v37, s5, -v46
	v_mul_f32_e32 v46, 0x3e903f40, v35
	v_add_f32_e32 v50, v52, v50
	v_add_f32_e32 v43, v43, v47
	v_fma_f32 v47, v10, s16, -v46
	v_mul_f32_e32 v52, 0x3e903f40, v11
	v_add_f32_e32 v47, v47, v53
	v_mov_b32_e32 v53, v52
	v_fmac_f32_e32 v46, 0xbf75a155, v10
	v_fmac_f32_e32 v53, 0xbf75a155, v37
	v_add_f32_e32 v46, v46, v51
	v_fma_f32 v51, v37, s16, -v52
	v_mul_f32_e32 v52, 0x3f7d64f0, v35
	v_add_f32_e32 v53, v53, v57
	v_add_f32_e32 v51, v51, v55
	v_fma_f32 v55, v10, s4, -v52
	v_mul_f32_e32 v57, 0x3f7d64f0, v11
	v_fmac_f32_e32 v52, 0xbe11bafb, v10
	v_mul_f32_e32 v35, 0x3f0a6770, v35
	v_mul_f32_e32 v11, 0x3f0a6770, v11
	v_add_f32_e32 v52, v52, v59
	v_fma_f32 v59, v10, s2, -v35
	v_fmac_f32_e32 v35, 0x3f575c64, v10
	v_fma_f32 v10, v37, s2, -v11
	v_add_f32_e32 v55, v55, v61
	v_mov_b32_e32 v61, v57
	v_fma_f32 v57, v37, s4, -v57
	v_add_f32_e32 v9, v10, v9
	v_add_f32_e32 v10, v29, v34
	v_sub_f32_e32 v29, v29, v34
	v_sub_f32_e32 v34, v54, v64
	v_add_f32_e32 v57, v57, v63
	v_mov_b32_e32 v63, v11
	v_add_f32_e32 v8, v35, v8
	v_mul_f32_e32 v35, 0xbf7d64f0, v34
	v_fmac_f32_e32 v61, 0xbe11bafb, v37
	v_fmac_f32_e32 v63, 0x3f575c64, v37
	v_fma_f32 v37, v10, s4, -v35
	v_add_f32_e32 v11, v54, v64
	v_add_f32_e32 v37, v37, v41
	v_mul_f32_e32 v41, 0xbf7d64f0, v29
	v_fmac_f32_e32 v35, 0xbe11bafb, v10
	v_add_f32_e32 v35, v35, v36
	v_fma_f32 v36, v11, s4, -v41
	v_add_f32_e32 v36, v36, v40
	v_mul_f32_e32 v40, 0x3e903f40, v34
	v_mov_b32_e32 v54, v41
	v_fma_f32 v41, v10, s16, -v40
	v_add_f32_e32 v41, v41, v44
	v_mul_f32_e32 v44, 0x3e903f40, v29
	v_fmac_f32_e32 v40, 0xbf75a155, v10
	v_add_f32_e32 v40, v40, v42
	v_fma_f32 v42, v11, s16, -v44
	v_fmac_f32_e32 v54, 0xbe11bafb, v11
	v_add_f32_e32 v42, v42, v43
	v_mul_f32_e32 v43, 0x3f68dda4, v34
	v_add_f32_e32 v45, v54, v45
	v_mov_b32_e32 v54, v44
	v_fma_f32 v44, v10, s3, -v43
	v_fmac_f32_e32 v54, 0xbf75a155, v11
	v_add_f32_e32 v44, v44, v47
	v_mul_f32_e32 v47, 0x3f68dda4, v29
	v_add_f32_e32 v50, v54, v50
	v_mov_b32_e32 v54, v47
	v_fmac_f32_e32 v43, 0x3ed4b147, v10
	v_fmac_f32_e32 v54, 0x3ed4b147, v11
	v_add_f32_e32 v43, v43, v46
	v_fma_f32 v46, v11, s3, -v47
	v_mul_f32_e32 v47, 0xbf0a6770, v34
	v_add_f32_e32 v53, v54, v53
	v_add_f32_e32 v46, v46, v51
	v_fma_f32 v51, v10, s2, -v47
	v_mul_f32_e32 v54, 0xbf0a6770, v29
	v_fmac_f32_e32 v47, 0x3f575c64, v10
	v_mul_f32_e32 v34, 0xbf4178ce, v34
	v_mul_f32_e32 v29, 0xbf4178ce, v29
	v_add_f32_e32 v51, v51, v55
	v_mov_b32_e32 v55, v54
	v_add_f32_e32 v47, v47, v52
	v_fma_f32 v52, v11, s2, -v54
	v_fma_f32 v54, v10, s5, -v34
	v_fmac_f32_e32 v34, 0xbf27a4f4, v10
	v_fma_f32 v10, v11, s5, -v29
	v_add_f32_e32 v52, v52, v57
	v_mov_b32_e32 v57, v29
	v_add_f32_e32 v9, v10, v9
	v_add_f32_e32 v10, v30, v33
	v_sub_f32_e32 v29, v30, v33
	v_sub_f32_e32 v30, v56, v62
	v_mul_f32_e32 v33, 0xbf4178ce, v30
	v_add_f32_e32 v8, v34, v8
	v_fma_f32 v34, v10, s5, -v33
	v_fmac_f32_e32 v55, 0x3f575c64, v11
	v_fmac_f32_e32 v57, 0xbf27a4f4, v11
	v_add_f32_e32 v11, v56, v62
	v_add_f32_e32 v34, v34, v37
	v_mul_f32_e32 v37, 0xbf4178ce, v29
	v_fmac_f32_e32 v33, 0xbf27a4f4, v10
	v_add_f32_e32 v33, v33, v35
	v_fma_f32 v35, v11, s5, -v37
	v_add_f32_e32 v35, v35, v36
	v_mul_f32_e32 v36, 0x3f7d64f0, v30
	v_mov_b32_e32 v56, v37
	v_fma_f32 v37, v10, s4, -v36
	v_fmac_f32_e32 v56, 0xbf27a4f4, v11
	v_add_f32_e32 v41, v37, v41
	v_mul_f32_e32 v37, 0x3f7d64f0, v29
	v_add_f32_e32 v45, v56, v45
	v_mov_b32_e32 v56, v37
	v_fmac_f32_e32 v36, 0xbe11bafb, v10
	v_fmac_f32_e32 v56, 0xbe11bafb, v11
	v_add_f32_e32 v40, v36, v40
	v_fma_f32 v36, v11, s4, -v37
	v_add_f32_e32 v50, v56, v50
	v_add_f32_e32 v56, v36, v42
	v_mul_f32_e32 v36, 0xbf0a6770, v30
	v_fma_f32 v37, v10, s2, -v36
	v_add_f32_e32 v59, v59, v70
	v_add_f32_e32 v44, v37, v44
	v_mul_f32_e32 v37, 0xbf0a6770, v29
	v_fmac_f32_e32 v36, 0x3f575c64, v10
	v_add_f32_e32 v54, v54, v59
	v_add_f32_e32 v59, v36, v43
	v_fma_f32 v36, v11, s2, -v37
	v_add_f32_e32 v46, v36, v46
	v_mul_f32_e32 v36, 0xbe903f40, v30
	v_mov_b32_e32 v42, v37
	v_fma_f32 v37, v10, s16, -v36
	v_add_f32_e32 v51, v37, v51
	v_mul_f32_e32 v37, 0xbe903f40, v29
	v_fmac_f32_e32 v36, 0xbf75a155, v10
	v_add_f32_e32 v47, v36, v47
	v_fma_f32 v36, v11, s16, -v37
	v_mul_f32_e32 v30, 0x3f68dda4, v30
	v_add_f32_e32 v61, v61, v65
	v_fmac_f32_e32 v42, 0x3f575c64, v11
	v_add_f32_e32 v52, v36, v52
	v_fma_f32 v36, v10, s3, -v30
	v_mul_f32_e32 v29, 0x3f68dda4, v29
	v_fmac_f32_e32 v30, 0x3ed4b147, v10
	v_add_f32_e32 v69, v58, v60
	v_sub_f32_e32 v58, v58, v60
	v_add_f32_e32 v63, v63, v71
	v_add_f32_e32 v55, v55, v61
	;; [unrolled: 1-line block ×3, first 2 shown]
	v_mov_b32_e32 v42, v37
	v_add_f32_e32 v54, v36, v54
	v_mov_b32_e32 v36, v29
	v_add_f32_e32 v61, v30, v8
	v_fma_f32 v8, v11, s3, -v29
	v_add_f32_e32 v62, v31, v32
	v_sub_f32_e32 v70, v31, v32
	v_mul_f32_e32 v10, 0xbe903f40, v58
	v_add_f32_e32 v57, v57, v63
	v_fmac_f32_e32 v42, 0xbf75a155, v11
	v_fmac_f32_e32 v36, 0x3ed4b147, v11
	v_add_f32_e32 v63, v8, v9
	v_fma_f32 v8, v62, s16, -v10
	v_mul_f32_e32 v11, 0xbe903f40, v70
	v_fmac_f32_e32 v10, 0xbf75a155, v62
	v_add_f32_e32 v57, v36, v57
	v_add_f32_e32 v36, v10, v33
	v_fma_f32 v10, v69, s16, -v11
	v_mul_f32_e32 v29, 0x3f0a6770, v58
	v_add_f32_e32 v37, v10, v35
	v_fma_f32 v10, v62, s2, -v29
	v_mul_f32_e32 v30, 0x3f0a6770, v70
	v_fmac_f32_e32 v29, 0x3f575c64, v62
	v_add_f32_e32 v55, v42, v55
	v_add_f32_e32 v42, v29, v40
	v_fma_f32 v29, v69, s2, -v30
	v_mul_f32_e32 v31, 0xbf4178ce, v58
	v_add_f32_e32 v43, v29, v56
	v_fma_f32 v29, v62, s5, -v31
	v_mul_f32_e32 v32, 0xbf4178ce, v70
	v_fmac_f32_e32 v31, 0xbf27a4f4, v62
	v_add_f32_e32 v40, v31, v59
	v_fma_f32 v31, v69, s5, -v32
	v_mul_f32_e32 v33, 0x3f68dda4, v58
	v_add_f32_e32 v8, v8, v34
	v_add_f32_e32 v10, v10, v41
	;; [unrolled: 1-line block ×3, first 2 shown]
	v_fma_f32 v31, v62, s3, -v33
	v_mul_f32_e32 v34, 0x3f68dda4, v70
	v_fmac_f32_e32 v33, 0x3ed4b147, v62
	v_mov_b32_e32 v9, v11
	v_add_f32_e32 v29, v29, v44
	v_add_f32_e32 v64, v33, v47
	v_fma_f32 v33, v69, s3, -v34
	v_mul_f32_e32 v35, 0xbf7d64f0, v58
	v_mul_f32_e32 v44, 0xbf7d64f0, v70
	v_fmac_f32_e32 v9, 0xbf75a155, v69
	v_mov_b32_e32 v11, v30
	v_mov_b32_e32 v30, v32
	;; [unrolled: 1-line block ×3, first 2 shown]
	v_add_f32_e32 v65, v33, v52
	v_fma_f32 v33, v62, s4, -v35
	v_mov_b32_e32 v34, v44
	v_fmac_f32_e32 v35, 0xbe11bafb, v62
	v_add_f32_e32 v9, v9, v45
	v_fmac_f32_e32 v11, 0x3f575c64, v69
	v_fmac_f32_e32 v30, 0xbf27a4f4, v69
	;; [unrolled: 1-line block ×4, first 2 shown]
	v_add_f32_e32 v62, v35, v61
	v_fma_f32 v35, v69, s4, -v44
	v_add_f32_e32 v11, v11, v50
	v_add_f32_e32 v30, v30, v53
	;; [unrolled: 1-line block ×7, first 2 shown]
	ds_write2_b64 v78, v[1:2], v[8:9] offset1:13
	ds_write2_b64 v78, v[10:11], v[29:30] offset0:26 offset1:39
	ds_write2_b64 v78, v[31:32], v[33:34] offset0:52 offset1:65
	;; [unrolled: 1-line block ×4, first 2 shown]
	ds_write_b64 v78, v[36:37] offset:1040
	s_waitcnt lgkmcnt(0)
	s_barrier
	ds_read2_b64 v[44:47], v77 offset1:143
	ds_read2_b64 v[52:55], v0 offset0:30 offset1:173
	ds_read2_b64 v[48:51], v49 offset0:60 offset1:203
	s_movk_i32 s2, 0x41
	v_cmp_gt_u16_e64 s[2:3], s2, v73
	s_and_saveexec_b64 s[4:5], s[2:3]
	s_cbranch_execz .LBB0_9
; %bb.8:
	ds_read2_b64 v[62:65], v77 offset0:78 offset1:221
	ds_read2_b64 v[40:43], v0 offset0:108 offset1:251
	v_add_u32_e32 v0, 0x1400, v77
	ds_read2_b64 v[36:39], v0 offset0:10 offset1:153
.LBB0_9:
	s_or_b64 exec, exec, s[4:5]
	v_mad_u64_u32 v[0:1], s[4:5], v73, 40, s[14:15]
	v_add_u32_e32 v2, 0x4e, v73
	global_load_dwordx2 v[71:72], v[0:1], off offset:1072
	global_load_dwordx4 v[28:31], v[0:1], off offset:1056
	global_load_dwordx4 v[32:35], v[0:1], off offset:1040
	v_add_u32_e32 v0, 0xffffffbf, v73
	v_cndmask_b32_e64 v0, v0, v2, s[2:3]
	v_mul_hi_i32_i24_e32 v1, 40, v0
	v_mul_i32_i24_e32 v0, 40, v0
	v_mov_b32_e32 v2, s15
	v_add_co_u32_e32 v56, vcc, s14, v0
	v_addc_co_u32_e32 v57, vcc, v2, v1, vcc
	global_load_dwordx4 v[0:3], v[56:57], off offset:1040
	global_load_dwordx4 v[8:11], v[56:57], off offset:1056
	global_load_dwordx2 v[69:70], v[56:57], off offset:1072
	s_waitcnt vmcnt(5) lgkmcnt(0)
	v_mul_f32_e32 v81, v51, v72
	s_waitcnt vmcnt(4)
	v_mul_f32_e32 v60, v55, v29
	s_waitcnt vmcnt(3)
	v_mul_f32_e32 v57, v46, v33
	v_mul_f32_e32 v58, v53, v35
	;; [unrolled: 1-line block ×8, first 2 shown]
	v_fmac_f32_e32 v57, v47, v32
	v_fma_f32 v47, v52, v34, -v58
	v_fma_f32 v52, v54, v28, -v60
	v_fmac_f32_e32 v61, v55, v28
	v_fmac_f32_e32 v80, v49, v30
	v_fma_f32 v49, v50, v71, -v81
	v_fmac_f32_e32 v82, v51, v71
	s_waitcnt vmcnt(1)
	v_mul_f32_e32 v87, v43, v9
	v_mul_f32_e32 v88, v42, v9
	;; [unrolled: 1-line block ×3, first 2 shown]
	s_waitcnt vmcnt(0)
	v_mul_f32_e32 v91, v39, v70
	v_mul_f32_e32 v92, v38, v70
	v_fma_f32 v46, v46, v32, -v56
	v_fmac_f32_e32 v59, v53, v34
	v_fma_f32 v48, v48, v30, -v79
	v_add_f32_e32 v50, v52, v49
	v_add_f32_e32 v56, v61, v82
	v_mul_f32_e32 v86, v40, v3
	v_mul_f32_e32 v89, v37, v11
	v_fma_f32 v54, v42, v8, -v87
	v_fmac_f32_e32 v88, v43, v8
	v_fmac_f32_e32 v90, v37, v10
	v_fma_f32 v37, v38, v69, -v91
	v_fmac_f32_e32 v92, v39, v69
	v_add_f32_e32 v38, v44, v47
	v_add_f32_e32 v39, v47, v48
	;; [unrolled: 1-line block ×3, first 2 shown]
	v_sub_f32_e32 v43, v47, v48
	v_add_f32_e32 v47, v46, v52
	v_sub_f32_e32 v51, v61, v82
	v_add_f32_e32 v55, v57, v61
	v_fmac_f32_e32 v46, -0.5, v50
	v_fmac_f32_e32 v57, -0.5, v56
	v_mul_f32_e32 v85, v41, v3
	v_fmac_f32_e32 v86, v41, v2
	v_add_f32_e32 v41, v45, v59
	v_sub_f32_e32 v52, v52, v49
	v_fma_f32 v60, -0.5, v42, v45
	v_mov_b32_e32 v45, v46
	v_fmac_f32_e32 v46, 0xbf5db3d7, v51
	v_mov_b32_e32 v50, v57
	v_fma_f32 v53, v40, v2, -v85
	v_sub_f32_e32 v40, v59, v80
	v_fma_f32 v39, -0.5, v39, v44
	v_fmac_f32_e32 v57, 0x3f5db3d7, v52
	v_fmac_f32_e32 v45, 0x3f5db3d7, v51
	v_fmac_f32_e32 v50, 0xbf5db3d7, v52
	v_mul_f32_e32 v52, -0.5, v46
	v_fma_f32 v36, v36, v10, -v89
	v_add_f32_e32 v38, v38, v48
	v_mov_b32_e32 v48, v39
	v_fmac_f32_e32 v39, 0xbf5db3d7, v40
	v_fmac_f32_e32 v52, 0x3f5db3d7, v57
	v_mul_f32_e32 v56, 0xbf5db3d7, v45
	v_add_f32_e32 v47, v47, v49
	v_mul_f32_e32 v51, 0x3f5db3d7, v50
	v_add_f32_e32 v44, v39, v52
	v_fmac_f32_e32 v56, 0.5, v50
	v_mul_f32_e32 v57, -0.5, v57
	v_sub_f32_e32 v50, v39, v52
	v_add_f32_e32 v39, v53, v36
	v_add_f32_e32 v59, v41, v80
	;; [unrolled: 1-line block ×3, first 2 shown]
	v_fmac_f32_e32 v48, 0x3f5db3d7, v40
	v_add_f32_e32 v40, v38, v47
	v_fmac_f32_e32 v57, 0xbf5db3d7, v46
	v_sub_f32_e32 v46, v38, v47
	v_add_f32_e32 v38, v62, v53
	v_fmac_f32_e32 v62, -0.5, v39
	v_add_f32_e32 v41, v59, v49
	v_sub_f32_e32 v47, v59, v49
	v_sub_f32_e32 v39, v86, v90
	v_mov_b32_e32 v59, v62
	v_add_f32_e32 v52, v86, v90
	v_mul_f32_e32 v83, v65, v1
	v_fmac_f32_e32 v59, 0x3f5db3d7, v39
	v_fmac_f32_e32 v62, 0xbf5db3d7, v39
	v_add_f32_e32 v39, v63, v86
	v_fmac_f32_e32 v63, -0.5, v52
	v_fma_f32 v58, v64, v0, -v83
	v_mov_b32_e32 v55, v60
	v_add_f32_e32 v38, v38, v36
	v_sub_f32_e32 v36, v53, v36
	v_mov_b32_e32 v61, v63
	v_add_f32_e32 v52, v54, v37
	v_mul_f32_e32 v84, v64, v1
	v_fmac_f32_e32 v55, 0xbf5db3d7, v43
	v_fmac_f32_e32 v61, 0xbf5db3d7, v36
	;; [unrolled: 1-line block ×3, first 2 shown]
	v_add_f32_e32 v36, v58, v54
	v_fmac_f32_e32 v58, -0.5, v52
	v_fmac_f32_e32 v84, v65, v0
	v_fmac_f32_e32 v60, 0x3f5db3d7, v43
	v_add_f32_e32 v43, v55, v56
	v_sub_f32_e32 v49, v55, v56
	v_sub_f32_e32 v52, v88, v92
	v_mov_b32_e32 v55, v58
	v_fmac_f32_e32 v55, 0x3f5db3d7, v52
	v_fmac_f32_e32 v58, 0xbf5db3d7, v52
	v_add_f32_e32 v52, v84, v88
	v_add_f32_e32 v64, v52, v92
	;; [unrolled: 1-line block ×3, first 2 shown]
	v_fmac_f32_e32 v51, 0.5, v45
	v_fmac_f32_e32 v84, -0.5, v52
	v_add_f32_e32 v42, v48, v51
	v_add_f32_e32 v45, v60, v57
	v_sub_f32_e32 v48, v48, v51
	v_sub_f32_e32 v51, v60, v57
	v_add_f32_e32 v36, v36, v37
	v_sub_f32_e32 v37, v54, v37
	v_mov_b32_e32 v57, v84
	v_fmac_f32_e32 v57, 0xbf5db3d7, v37
	v_fmac_f32_e32 v84, 0x3f5db3d7, v37
	v_mul_f32_e32 v37, 0x3f5db3d7, v57
	v_add_f32_e32 v39, v39, v90
	v_fmac_f32_e32 v37, 0.5, v55
	v_add_f32_e32 v54, v59, v37
	v_mul_f32_e32 v65, -0.5, v58
	v_add_f32_e32 v53, v39, v64
	v_mul_f32_e32 v79, 0xbf5db3d7, v55
	v_mul_f32_e32 v80, -0.5, v84
	v_sub_f32_e32 v60, v59, v37
	v_sub_f32_e32 v59, v39, v64
	v_lshl_add_u32 v64, v73, 3, v75
	v_add_f32_e32 v52, v38, v36
	v_fmac_f32_e32 v65, 0x3f5db3d7, v84
	v_fmac_f32_e32 v79, 0.5, v57
	v_fmac_f32_e32 v80, 0xbf5db3d7, v58
	v_sub_f32_e32 v58, v38, v36
	v_add_u32_e32 v36, 0x800, v64
	v_add_f32_e32 v56, v62, v65
	v_add_f32_e32 v55, v61, v79
	;; [unrolled: 1-line block ×3, first 2 shown]
	v_sub_f32_e32 v62, v62, v65
	v_sub_f32_e32 v61, v61, v79
	;; [unrolled: 1-line block ×3, first 2 shown]
	ds_write2_b64 v36, v[44:45], v[46:47] offset0:30 offset1:173
	v_add_u32_e32 v36, 0x1000, v64
	ds_write2_b64 v64, v[40:41], v[42:43] offset1:143
	ds_write2_b64 v36, v[48:49], v[50:51] offset0:60 offset1:203
	s_and_saveexec_b64 s[4:5], s[2:3]
	s_cbranch_execz .LBB0_11
; %bb.10:
	v_add_u32_e32 v36, 0x800, v64
	ds_write2_b64 v36, v[56:57], v[58:59] offset0:108 offset1:251
	v_add_u32_e32 v36, 0x1400, v64
	ds_write2_b64 v64, v[52:53], v[54:55] offset0:78 offset1:221
	ds_write2_b64 v36, v[60:61], v[62:63] offset0:10 offset1:153
.LBB0_11:
	s_or_b64 exec, exec, s[4:5]
	s_waitcnt lgkmcnt(0)
	s_barrier
	s_and_saveexec_b64 s[14:15], s[0:1]
	s_cbranch_execz .LBB0_13
; %bb.12:
	v_mov_b32_e32 v36, s13
	v_add_co_u32_e32 v65, vcc, s12, v74
	v_addc_co_u32_e32 v81, vcc, 0, v36, vcc
	s_movk_i32 s4, 0x2000
	v_add_co_u32_e32 v36, vcc, 0x1ad0, v65
	v_add_co_u32_e64 v79, s[4:5], s4, v65
	v_addc_co_u32_e32 v37, vcc, 0, v81, vcc
	v_addc_co_u32_e64 v80, s[4:5], 0, v81, s[4:5]
	v_add_co_u32_e32 v38, vcc, 0x1000, v65
	global_load_dwordx2 v[99:100], v[36:37], off offset:528
	global_load_dwordx2 v[101:102], v[36:37], off offset:1056
	global_load_dwordx2 v[103:104], v[36:37], off offset:1584
	global_load_dwordx2 v[105:106], v[36:37], off offset:2112
	global_load_dwordx2 v[107:108], v[36:37], off offset:2640
	global_load_dwordx2 v[109:110], v[36:37], off offset:3168
	global_load_dwordx2 v[111:112], v[79:80], off offset:2896
	v_addc_co_u32_e32 v39, vcc, 0, v81, vcc
	global_load_dwordx2 v[113:114], v[79:80], off offset:3424
	global_load_dwordx2 v[115:116], v[38:39], off offset:2768
	;; [unrolled: 1-line block ×3, first 2 shown]
	s_movk_i32 s4, 0x3000
	v_add_co_u32_e32 v36, vcc, s4, v65
	global_load_dwordx2 v[119:120], v[79:80], off offset:3952
	v_addc_co_u32_e32 v37, vcc, 0, v81, vcc
	global_load_dwordx2 v[121:122], v[36:37], off offset:384
	global_load_dwordx2 v[123:124], v[36:37], off offset:912
	ds_read2_b64 v[36:39], v64 offset1:66
	ds_read2_b64 v[79:82], v64 offset0:132 offset1:198
	v_add_u32_e32 v65, 0x800, v64
	v_add_u32_e32 v127, 0x1000, v64
	ds_read2_b64 v[83:86], v65 offset0:8 offset1:74
	ds_read2_b64 v[87:90], v65 offset0:140 offset1:206
	;; [unrolled: 1-line block ×4, first 2 shown]
	s_waitcnt vmcnt(12) lgkmcnt(5)
	v_mul_f32_e32 v125, v39, v100
	v_mul_f32_e32 v126, v38, v100
	s_waitcnt vmcnt(11) lgkmcnt(4)
	v_mul_f32_e32 v128, v80, v102
	v_mul_f32_e32 v100, v79, v102
	s_waitcnt vmcnt(10)
	v_mul_f32_e32 v129, v82, v104
	v_mul_f32_e32 v102, v81, v104
	s_waitcnt vmcnt(9) lgkmcnt(3)
	v_mul_f32_e32 v130, v84, v106
	v_mul_f32_e32 v104, v83, v106
	s_waitcnt vmcnt(8)
	v_mul_f32_e32 v131, v86, v108
	v_mul_f32_e32 v106, v85, v108
	s_waitcnt vmcnt(7) lgkmcnt(2)
	v_mul_f32_e32 v132, v88, v110
	v_mul_f32_e32 v108, v87, v110
	s_waitcnt vmcnt(6) lgkmcnt(1)
	v_mul_f32_e32 v133, v92, v112
	v_mul_f32_e32 v110, v91, v112
	s_waitcnt vmcnt(4)
	v_mul_f32_e32 v135, v37, v116
	v_mul_f32_e32 v112, v36, v116
	v_fma_f32 v125, v38, v99, -v125
	v_fmac_f32_e32 v126, v39, v99
	v_fma_f32 v99, v79, v101, -v128
	v_fmac_f32_e32 v100, v80, v101
	;; [unrolled: 2-line block ×6, first 2 shown]
	s_waitcnt vmcnt(3)
	v_mul_f32_e32 v39, v90, v118
	v_mul_f32_e32 v38, v89, v118
	v_fma_f32 v109, v91, v111, -v133
	v_fmac_f32_e32 v110, v92, v111
	v_fma_f32 v111, v36, v115, -v135
	v_fmac_f32_e32 v112, v37, v115
	ds_write2_b64 v64, v[99:100], v[101:102] offset0:132 offset1:198
	ds_write2_b64 v65, v[103:104], v[105:106] offset0:8 offset1:74
	v_fma_f32 v37, v89, v117, -v39
	v_fmac_f32_e32 v38, v90, v117
	ds_write2_b64 v64, v[111:112], v[125:126] offset1:66
	ds_write2_b64 v65, v[107:108], v[37:38] offset0:140 offset1:206
	ds_read_b64 v[38:39], v64 offset:6336
	v_mul_f32_e32 v134, v94, v114
	v_mul_f32_e32 v37, v93, v114
	v_fma_f32 v36, v93, v113, -v134
	v_fmac_f32_e32 v37, v94, v113
	ds_write2_b64 v127, v[109:110], v[36:37] offset0:16 offset1:82
	s_waitcnt vmcnt(2) lgkmcnt(6)
	v_mul_f32_e32 v36, v96, v120
	v_mul_f32_e32 v37, v95, v120
	s_waitcnt vmcnt(1)
	v_mul_f32_e32 v65, v98, v122
	v_mul_f32_e32 v80, v97, v122
	v_fma_f32 v36, v95, v119, -v36
	v_fmac_f32_e32 v37, v96, v119
	v_fma_f32 v79, v97, v121, -v65
	v_fmac_f32_e32 v80, v98, v121
	ds_write2_b64 v127, v[36:37], v[79:80] offset0:148 offset1:214
	s_waitcnt vmcnt(0) lgkmcnt(2)
	v_mul_f32_e32 v36, v39, v124
	v_mul_f32_e32 v37, v38, v124
	v_fma_f32 v36, v38, v123, -v36
	v_fmac_f32_e32 v37, v39, v123
	ds_write_b64 v64, v[36:37] offset:6336
.LBB0_13:
	s_or_b64 exec, exec, s[14:15]
	s_waitcnt lgkmcnt(0)
	s_barrier
	s_and_saveexec_b64 s[4:5], s[0:1]
	s_cbranch_execz .LBB0_15
; %bb.14:
	v_add_u32_e32 v36, 0x800, v64
	ds_read2_b64 v[40:43], v64 offset1:66
	ds_read2_b64 v[44:47], v64 offset0:132 offset1:198
	ds_read2_b64 v[48:51], v36 offset0:8 offset1:74
	;; [unrolled: 1-line block ×3, first 2 shown]
	v_add_u32_e32 v36, 0x1000, v64
	ds_read2_b64 v[56:59], v36 offset0:16 offset1:82
	ds_read2_b64 v[60:63], v36 offset0:148 offset1:214
	ds_read_b64 v[67:68], v64 offset:6336
.LBB0_15:
	s_or_b64 exec, exec, s[4:5]
	s_waitcnt lgkmcnt(0)
	v_sub_f32_e32 v88, v43, v68
	v_add_f32_e32 v36, v67, v42
	v_add_f32_e32 v91, v68, v43
	s_mov_b32 s14, 0x3f116cb1
	v_mul_f32_e32 v95, 0xbf52af12, v88
	v_mul_f32_e32 v100, 0x3f116cb1, v91
	v_fma_f32 v37, v36, s14, -v95
	v_sub_f32_e32 v65, v42, v67
	v_add_f32_e32 v38, v40, v37
	v_mov_b32_e32 v37, v100
	v_fmac_f32_e32 v37, 0xbf52af12, v65
	v_sub_f32_e32 v89, v45, v63
	v_add_f32_e32 v39, v41, v37
	v_add_f32_e32 v37, v62, v44
	v_add_f32_e32 v93, v63, v45
	s_mov_b32 s15, 0xbeb58ec6
	v_mul_f32_e32 v99, 0xbf6f5d39, v89
	v_mul_f32_e32 v103, 0xbeb58ec6, v93
	v_fma_f32 v79, v37, s15, -v99
	v_sub_f32_e32 v80, v44, v62
	v_add_f32_e32 v38, v79, v38
	v_mov_b32_e32 v79, v103
	v_fmac_f32_e32 v79, 0xbf6f5d39, v80
	v_sub_f32_e32 v90, v47, v61
	v_add_f32_e32 v39, v79, v39
	;; [unrolled: 12-line block ×3, first 2 shown]
	v_add_f32_e32 v81, v58, v48
	v_add_f32_e32 v98, v59, v49
	v_mul_f32_e32 v105, 0x3f29c268, v92
	v_mul_f32_e32 v108, 0xbf3f9e67, v98
	v_fma_f32 v83, v81, s17, -v105
	v_sub_f32_e32 v84, v48, v58
	v_add_f32_e32 v38, v83, v38
	v_mov_b32_e32 v83, v108
	v_fmac_f32_e32 v83, 0x3f29c268, v84
	v_sub_f32_e32 v94, v51, v57
	v_add_f32_e32 v39, v83, v39
	v_add_f32_e32 v83, v56, v50
	;; [unrolled: 1-line block ×3, first 2 shown]
	s_mov_b32 s18, 0x3df6dbef
	v_mul_f32_e32 v107, 0x3f7e222b, v94
	v_mul_f32_e32 v110, 0x3df6dbef, v101
	v_fma_f32 v85, v83, s18, -v107
	v_sub_f32_e32 v86, v50, v56
	v_add_f32_e32 v38, v85, v38
	v_mov_b32_e32 v85, v110
	v_fmac_f32_e32 v85, 0x3f7e222b, v86
	v_sub_f32_e32 v97, v53, v55
	v_add_f32_e32 v39, v85, v39
	v_add_f32_e32 v85, v54, v52
	;; [unrolled: 1-line block ×3, first 2 shown]
	s_mov_b32 s19, 0x3f62ad3f
	v_mul_f32_e32 v109, 0x3eedf032, v97
	v_mul_f32_e32 v111, 0x3f62ad3f, v104
	v_fma_f32 v112, v85, s19, -v109
	v_sub_f32_e32 v87, v52, v54
	v_add_f32_e32 v38, v112, v38
	v_mov_b32_e32 v112, v111
	v_fmac_f32_e32 v112, 0x3eedf032, v87
	v_add_f32_e32 v39, v112, v39
	s_barrier
	s_and_saveexec_b64 s[4:5], s[0:1]
	s_cbranch_execz .LBB0_17
; %bb.16:
	v_mul_f32_e32 v132, 0xbf788fa5, v91
	v_mov_b32_e32 v112, v132
	v_mul_f32_e32 v133, 0x3f62ad3f, v93
	v_fmac_f32_e32 v112, 0x3e750f2a, v65
	v_mov_b32_e32 v113, v133
	v_add_f32_e32 v112, v41, v112
	v_fmac_f32_e32 v113, 0xbeedf032, v80
	v_mul_f32_e32 v134, 0xbf3f9e67, v96
	v_add_f32_e32 v112, v113, v112
	v_mov_b32_e32 v113, v134
	v_fmac_f32_e32 v113, 0x3f29c268, v82
	v_mul_f32_e32 v135, 0x3f116cb1, v98
	v_add_f32_e32 v112, v113, v112
	v_mov_b32_e32 v113, v135
	v_fmac_f32_e32 v113, 0xbf52af12, v84
	v_mul_f32_e32 v136, 0xbeb58ec6, v101
	v_add_f32_e32 v112, v113, v112
	v_mov_b32_e32 v113, v136
	v_fmac_f32_e32 v113, 0x3f6f5d39, v86
	v_mul_f32_e32 v137, 0x3df6dbef, v104
	v_add_f32_e32 v112, v113, v112
	v_mov_b32_e32 v113, v137
	v_fmac_f32_e32 v113, 0xbf7e222b, v87
	v_mul_f32_e32 v138, 0xbe750f2a, v88
	v_add_f32_e32 v113, v113, v112
	v_mov_b32_e32 v112, v138
	v_mul_f32_e32 v139, 0x3eedf032, v89
	v_fmac_f32_e32 v112, 0xbf788fa5, v36
	v_mov_b32_e32 v114, v139
	v_add_f32_e32 v112, v40, v112
	v_fmac_f32_e32 v114, 0x3f62ad3f, v37
	v_mul_f32_e32 v140, 0xbf29c268, v90
	v_add_f32_e32 v112, v114, v112
	v_mov_b32_e32 v114, v140
	v_fmac_f32_e32 v114, 0xbf3f9e67, v79
	v_mul_f32_e32 v141, 0x3f52af12, v92
	v_add_f32_e32 v112, v114, v112
	v_mov_b32_e32 v114, v141
	v_fmac_f32_e32 v114, 0x3f116cb1, v81
	v_mul_f32_e32 v142, 0xbf6f5d39, v94
	v_add_f32_e32 v112, v114, v112
	v_mov_b32_e32 v114, v142
	v_fmac_f32_e32 v114, 0xbeb58ec6, v83
	v_mul_f32_e32 v143, 0x3f7e222b, v97
	v_add_f32_e32 v112, v114, v112
	v_mov_b32_e32 v114, v143
	v_fmac_f32_e32 v114, 0x3df6dbef, v85
	v_mul_f32_e32 v144, 0xbf3f9e67, v91
	v_add_f32_e32 v112, v114, v112
	;; [unrolled: 24-line block ×4, first 2 shown]
	v_mov_b32_e32 v116, v156
	v_mul_f32_e32 v157, 0xbf3f9e67, v93
	v_fmac_f32_e32 v116, 0x3f6f5d39, v65
	v_mov_b32_e32 v117, v157
	v_add_f32_e32 v116, v41, v116
	v_fmac_f32_e32 v117, 0xbf29c268, v80
	v_mul_f32_e32 v158, 0x3f62ad3f, v96
	v_add_f32_e32 v116, v117, v116
	v_mov_b32_e32 v117, v158
	v_add_f32_e32 v42, v42, v40
	v_fmac_f32_e32 v132, 0xbe750f2a, v65
	v_fmac_f32_e32 v117, 0xbeedf032, v82
	v_mul_f32_e32 v159, 0x3df6dbef, v98
	v_add_f32_e32 v42, v44, v42
	v_add_f32_e32 v44, v41, v132
	v_fmac_f32_e32 v133, 0x3eedf032, v80
	v_add_f32_e32 v116, v117, v116
	v_mov_b32_e32 v117, v159
	v_add_f32_e32 v44, v133, v44
	v_fmac_f32_e32 v134, 0xbf29c268, v82
	v_fmac_f32_e32 v117, 0x3f7e222b, v84
	v_mul_f32_e32 v160, 0xbf788fa5, v101
	v_add_f32_e32 v44, v134, v44
	v_fmac_f32_e32 v135, 0x3f52af12, v84
	v_add_f32_e32 v116, v117, v116
	v_mov_b32_e32 v117, v160
	v_add_f32_e32 v44, v135, v44
	v_fmac_f32_e32 v136, 0xbf6f5d39, v86
	v_fmac_f32_e32 v117, 0xbe750f2a, v86
	v_mul_f32_e32 v161, 0x3f116cb1, v104
	v_add_f32_e32 v43, v43, v41
	v_add_f32_e32 v44, v136, v44
	v_fmac_f32_e32 v137, 0x3f7e222b, v87
	v_add_f32_e32 v116, v117, v116
	v_mov_b32_e32 v117, v161
	v_add_f32_e32 v43, v45, v43
	v_add_f32_e32 v45, v137, v44
	v_fma_f32 v44, v36, s16, -v138
	v_fmac_f32_e32 v117, 0xbf52af12, v87
	v_mul_f32_e32 v162, 0xbf6f5d39, v88
	v_add_f32_e32 v42, v46, v42
	v_add_f32_e32 v44, v40, v44
	v_fma_f32 v46, v37, s19, -v139
	v_add_f32_e32 v117, v117, v116
	v_mov_b32_e32 v116, v162
	v_mul_f32_e32 v163, 0x3f29c268, v89
	v_add_f32_e32 v44, v46, v44
	v_fma_f32 v46, v79, s17, -v140
	v_fmac_f32_e32 v116, 0xbeb58ec6, v36
	v_mov_b32_e32 v118, v163
	v_add_f32_e32 v44, v46, v44
	v_fma_f32 v46, v81, s14, -v141
	v_add_f32_e32 v116, v40, v116
	v_fmac_f32_e32 v118, 0xbf3f9e67, v37
	v_mul_f32_e32 v164, 0x3eedf032, v90
	v_add_f32_e32 v44, v46, v44
	v_fma_f32 v46, v83, s15, -v142
	v_add_f32_e32 v116, v118, v116
	v_mov_b32_e32 v118, v164
	v_add_f32_e32 v44, v46, v44
	v_fma_f32 v46, v85, s18, -v143
	v_fmac_f32_e32 v144, 0xbf29c268, v65
	v_fmac_f32_e32 v118, 0x3f62ad3f, v79
	v_mul_f32_e32 v165, 0xbf7e222b, v92
	v_add_f32_e32 v44, v46, v44
	v_add_f32_e32 v46, v41, v144
	v_fmac_f32_e32 v145, 0x3f7e222b, v80
	v_mul_f32_e32 v120, 0x3f116cb1, v36
	v_add_f32_e32 v116, v118, v116
	v_mov_b32_e32 v118, v165
	v_add_f32_e32 v46, v145, v46
	v_fmac_f32_e32 v146, 0xbf52af12, v82
	v_mul_f32_e32 v122, 0xbeb58ec6, v37
	v_fmac_f32_e32 v118, 0x3df6dbef, v81
	v_mul_f32_e32 v166, 0x3e750f2a, v94
	v_add_f32_e32 v95, v120, v95
	v_add_f32_e32 v46, v146, v46
	v_fmac_f32_e32 v147, 0x3e750f2a, v84
	v_mul_f32_e32 v124, 0xbf788fa5, v79
	v_add_f32_e32 v116, v118, v116
	v_mov_b32_e32 v118, v166
	v_add_f32_e32 v95, v40, v95
	v_add_f32_e32 v99, v122, v99
	;; [unrolled: 1-line block ×3, first 2 shown]
	v_fmac_f32_e32 v148, 0x3eedf032, v86
	v_mul_f32_e32 v126, 0xbf3f9e67, v81
	v_fmac_f32_e32 v118, 0xbf788fa5, v83
	v_mul_f32_e32 v167, 0x3f52af12, v97
	v_add_f32_e32 v95, v99, v95
	v_add_f32_e32 v99, v124, v102
	;; [unrolled: 1-line block ×3, first 2 shown]
	v_fmac_f32_e32 v149, 0xbf6f5d39, v87
	v_mul_f32_e32 v128, 0x3df6dbef, v83
	v_add_f32_e32 v116, v118, v116
	v_mov_b32_e32 v118, v167
	v_add_f32_e32 v95, v99, v95
	v_add_f32_e32 v99, v126, v105
	;; [unrolled: 1-line block ×4, first 2 shown]
	v_fma_f32 v46, v36, s17, -v150
	v_mul_f32_e32 v130, 0x3f62ad3f, v85
	v_fmac_f32_e32 v118, 0x3f116cb1, v85
	v_mul_f32_e32 v168, 0x3df6dbef, v91
	v_add_f32_e32 v95, v99, v95
	v_add_f32_e32 v99, v128, v107
	;; [unrolled: 1-line block ×4, first 2 shown]
	v_fma_f32 v48, v37, s18, -v151
	v_add_f32_e32 v116, v118, v116
	v_mov_b32_e32 v118, v168
	v_mul_f32_e32 v169, 0xbf788fa5, v93
	v_add_f32_e32 v95, v99, v95
	v_add_f32_e32 v99, v130, v109
	;; [unrolled: 1-line block ×3, first 2 shown]
	v_fma_f32 v48, v79, s14, -v152
	v_fmac_f32_e32 v118, 0x3f7e222b, v65
	v_mov_b32_e32 v119, v169
	v_add_f32_e32 v99, v99, v95
	v_mul_f32_e32 v95, 0x3f62ad3f, v91
	v_add_f32_e32 v46, v48, v46
	v_fma_f32 v48, v81, s16, -v153
	v_add_f32_e32 v118, v41, v118
	v_fmac_f32_e32 v119, 0x3e750f2a, v80
	v_mul_f32_e32 v170, 0xbeb58ec6, v96
	v_mov_b32_e32 v91, v95
	v_mul_f32_e32 v93, 0x3f116cb1, v93
	v_add_f32_e32 v46, v48, v46
	v_fma_f32 v48, v83, s19, -v154
	v_add_f32_e32 v118, v119, v118
	v_mov_b32_e32 v119, v170
	v_fmac_f32_e32 v91, 0x3eedf032, v65
	v_mov_b32_e32 v102, v93
	v_add_f32_e32 v46, v48, v46
	v_fma_f32 v48, v85, s15, -v155
	v_fmac_f32_e32 v156, 0xbf6f5d39, v65
	v_fmac_f32_e32 v119, 0xbf6f5d39, v82
	v_mul_f32_e32 v171, 0x3f62ad3f, v98
	v_add_f32_e32 v91, v41, v91
	v_fmac_f32_e32 v102, 0x3f52af12, v80
	v_mul_f32_e32 v96, 0x3df6dbef, v96
	v_add_f32_e32 v46, v48, v46
	v_add_f32_e32 v48, v41, v156
	v_fmac_f32_e32 v157, 0x3f29c268, v80
	v_mul_f32_e32 v121, 0xbf52af12, v65
	v_add_f32_e32 v118, v119, v118
	v_mov_b32_e32 v119, v171
	v_add_f32_e32 v91, v102, v91
	v_mov_b32_e32 v102, v96
	v_add_f32_e32 v48, v157, v48
	v_fmac_f32_e32 v158, 0x3eedf032, v82
	v_mul_f32_e32 v123, 0xbf6f5d39, v80
	v_fmac_f32_e32 v119, 0xbeedf032, v84
	v_mul_f32_e32 v172, 0x3f116cb1, v101
	v_sub_f32_e32 v100, v100, v121
	v_fmac_f32_e32 v102, 0x3f7e222b, v82
	v_mul_f32_e32 v98, 0xbeb58ec6, v98
	v_add_f32_e32 v48, v158, v48
	v_fmac_f32_e32 v159, 0xbf7e222b, v84
	v_mul_f32_e32 v125, 0xbe750f2a, v82
	v_add_f32_e32 v118, v119, v118
	v_mov_b32_e32 v119, v172
	v_add_f32_e32 v100, v41, v100
	v_sub_f32_e32 v103, v103, v123
	v_add_f32_e32 v91, v102, v91
	v_mov_b32_e32 v102, v98
	v_add_f32_e32 v48, v159, v48
	v_fmac_f32_e32 v160, 0x3e750f2a, v86
	v_mul_f32_e32 v127, 0x3f29c268, v84
	v_fmac_f32_e32 v119, 0x3f52af12, v86
	v_mul_f32_e32 v173, 0xbf3f9e67, v104
	v_add_f32_e32 v100, v103, v100
	v_sub_f32_e32 v103, v106, v125
	v_fmac_f32_e32 v102, 0x3f6f5d39, v84
	v_mul_f32_e32 v101, 0xbf3f9e67, v101
	v_add_f32_e32 v48, v160, v48
	v_fmac_f32_e32 v161, 0x3f52af12, v87
	v_mul_f32_e32 v129, 0x3f7e222b, v86
	v_add_f32_e32 v118, v119, v118
	v_mov_b32_e32 v119, v173
	v_add_f32_e32 v100, v103, v100
	v_sub_f32_e32 v103, v108, v127
	v_add_f32_e32 v91, v102, v91
	v_mov_b32_e32 v102, v101
	v_add_f32_e32 v43, v49, v43
	v_add_f32_e32 v49, v161, v48
	v_fma_f32 v48, v36, s15, -v162
	v_mul_f32_e32 v131, 0x3eedf032, v87
	v_fmac_f32_e32 v119, 0x3f29c268, v87
	v_mul_f32_e32 v174, 0xbf7e222b, v88
	v_add_f32_e32 v100, v103, v100
	v_sub_f32_e32 v103, v110, v129
	v_fmac_f32_e32 v102, 0x3f29c268, v86
	v_add_f32_e32 v42, v50, v42
	v_add_f32_e32 v48, v40, v48
	v_fma_f32 v50, v37, s17, -v163
	v_add_f32_e32 v119, v119, v118
	v_mov_b32_e32 v118, v174
	v_mul_f32_e32 v175, 0xbe750f2a, v89
	v_add_f32_e32 v100, v103, v100
	v_sub_f32_e32 v103, v111, v131
	v_add_f32_e32 v91, v102, v91
	v_mul_f32_e32 v102, 0xbf788fa5, v104
	v_add_f32_e32 v48, v50, v48
	v_fma_f32 v50, v79, s19, -v164
	v_fmac_f32_e32 v118, 0x3df6dbef, v36
	v_mov_b32_e32 v176, v175
	v_add_f32_e32 v100, v103, v100
	v_mov_b32_e32 v103, v102
	v_add_f32_e32 v48, v50, v48
	v_fma_f32 v50, v81, s18, -v165
	v_add_f32_e32 v118, v40, v118
	v_fmac_f32_e32 v176, 0xbf788fa5, v37
	v_fmac_f32_e32 v103, 0x3e750f2a, v87
	v_mul_f32_e32 v88, 0xbeedf032, v88
	v_add_f32_e32 v48, v50, v48
	v_fma_f32 v50, v83, s16, -v166
	v_add_f32_e32 v118, v176, v118
	v_mul_f32_e32 v176, 0x3f6f5d39, v90
	v_add_f32_e32 v91, v103, v91
	v_mov_b32_e32 v103, v88
	v_mul_f32_e32 v89, 0xbf52af12, v89
	v_add_f32_e32 v48, v50, v48
	v_fma_f32 v50, v85, s14, -v167
	v_fmac_f32_e32 v168, 0xbf7e222b, v65
	v_mov_b32_e32 v177, v176
	v_fmac_f32_e32 v103, 0x3f62ad3f, v36
	v_mov_b32_e32 v104, v89
	v_add_f32_e32 v48, v50, v48
	v_add_f32_e32 v50, v41, v168
	v_fmac_f32_e32 v169, 0xbe750f2a, v80
	v_fmac_f32_e32 v177, 0xbeb58ec6, v79
	v_add_f32_e32 v103, v40, v103
	v_fmac_f32_e32 v104, 0x3f116cb1, v37
	v_add_f32_e32 v50, v169, v50
	;; [unrolled: 2-line block ×3, first 2 shown]
	v_mul_f32_e32 v177, 0x3eedf032, v92
	v_add_f32_e32 v103, v104, v103
	v_mul_f32_e32 v104, 0xbf7e222b, v90
	v_add_f32_e32 v50, v170, v50
	v_fmac_f32_e32 v171, 0x3eedf032, v84
	v_mov_b32_e32 v178, v177
	v_mov_b32_e32 v90, v104
	v_add_f32_e32 v50, v171, v50
	v_fmac_f32_e32 v172, 0xbf52af12, v86
	v_fmac_f32_e32 v178, 0x3f62ad3f, v81
	;; [unrolled: 1-line block ×3, first 2 shown]
	v_mul_f32_e32 v92, 0xbf6f5d39, v92
	v_add_f32_e32 v43, v51, v43
	v_add_f32_e32 v50, v172, v50
	v_fmac_f32_e32 v173, 0xbf29c268, v87
	v_add_f32_e32 v118, v178, v118
	v_mul_f32_e32 v178, 0xbf52af12, v94
	v_add_f32_e32 v90, v90, v103
	v_mov_b32_e32 v103, v92
	v_add_f32_e32 v43, v53, v43
	v_add_f32_e32 v42, v52, v42
	;; [unrolled: 1-line block ×3, first 2 shown]
	v_fma_f32 v50, v36, s18, -v174
	v_fma_f32 v36, v36, s19, -v88
	v_mov_b32_e32 v179, v178
	v_fmac_f32_e32 v103, 0xbeb58ec6, v81
	v_mul_f32_e32 v94, 0xbf29c268, v94
	v_add_f32_e32 v43, v55, v43
	v_add_f32_e32 v42, v54, v42
	v_fma_f32 v52, v37, s16, -v175
	v_fmac_f32_e32 v95, 0xbeedf032, v65
	v_add_f32_e32 v36, v40, v36
	v_fma_f32 v37, v37, s14, -v89
	v_fmac_f32_e32 v179, 0x3f116cb1, v83
	v_add_f32_e32 v90, v103, v90
	v_mov_b32_e32 v103, v94
	v_add_f32_e32 v43, v57, v43
	v_add_f32_e32 v42, v56, v42
	;; [unrolled: 1-line block ×4, first 2 shown]
	v_fmac_f32_e32 v93, 0xbf52af12, v80
	v_add_f32_e32 v36, v37, v36
	v_fma_f32 v37, v79, s18, -v104
	v_add_f32_e32 v118, v179, v118
	v_mul_f32_e32 v179, 0xbf29c268, v97
	v_fmac_f32_e32 v103, 0xbf3f9e67, v83
	v_mul_f32_e32 v97, 0xbe750f2a, v97
	v_add_f32_e32 v43, v59, v43
	v_add_f32_e32 v42, v58, v42
	;; [unrolled: 1-line block ×3, first 2 shown]
	v_fma_f32 v52, v79, s15, -v176
	v_add_f32_e32 v41, v93, v41
	v_fmac_f32_e32 v96, 0xbf7e222b, v82
	v_add_f32_e32 v36, v37, v36
	v_fma_f32 v37, v81, s15, -v92
	v_add_f32_e32 v90, v103, v90
	v_mov_b32_e32 v103, v97
	v_add_f32_e32 v43, v61, v43
	v_add_f32_e32 v42, v60, v42
	v_add_f32_e32 v50, v52, v50
	v_fma_f32 v52, v81, s19, -v177
	v_add_f32_e32 v41, v96, v41
	v_fmac_f32_e32 v98, 0xbf6f5d39, v84
	v_add_f32_e32 v36, v37, v36
	v_fma_f32 v37, v83, s17, -v94
	v_mov_b32_e32 v180, v179
	v_fmac_f32_e32 v103, 0xbf788fa5, v85
	v_add_f32_e32 v43, v63, v43
	v_add_f32_e32 v42, v62, v42
	;; [unrolled: 1-line block ×3, first 2 shown]
	v_fma_f32 v52, v83, s14, -v178
	v_add_f32_e32 v41, v98, v41
	v_fmac_f32_e32 v101, 0xbf29c268, v86
	v_add_f32_e32 v36, v37, v36
	v_fma_f32 v37, v85, s16, -v97
	v_fmac_f32_e32 v180, 0xbf3f9e67, v85
	v_add_f32_e32 v90, v103, v90
	v_add_f32_e32 v43, v68, v43
	;; [unrolled: 1-line block ×4, first 2 shown]
	v_fma_f32 v52, v85, s17, -v179
	v_add_f32_e32 v41, v101, v41
	v_fmac_f32_e32 v102, 0xbe750f2a, v87
	v_add_f32_e32 v40, v37, v36
	v_lshl_add_u32 v36, v76, 3, v75
	v_add_f32_e32 v118, v180, v118
	v_add_f32_e32 v50, v52, v50
	;; [unrolled: 1-line block ×3, first 2 shown]
	ds_write2_b64 v36, v[42:43], v[90:91] offset1:1
	ds_write2_b64 v36, v[99:100], v[118:119] offset0:2 offset1:3
	ds_write2_b64 v36, v[116:117], v[114:115] offset0:4 offset1:5
	;; [unrolled: 1-line block ×5, first 2 shown]
	ds_write_b64 v36, v[40:41] offset:96
.LBB0_17:
	s_or_b64 exec, exec, s[4:5]
	s_waitcnt lgkmcnt(0)
	s_barrier
	ds_read2_b64 v[41:44], v77 offset1:78
	ds_read2_b64 v[45:48], v77 offset0:156 offset1:234
	v_add_u32_e32 v40, 0x800, v77
	ds_read2_b64 v[49:52], v40 offset0:56 offset1:134
	v_add_u32_e32 v36, 0xc00, v77
	ds_read2_b64 v[53:56], v36 offset0:84 offset1:162
	s_waitcnt lgkmcnt(3)
	v_mul_f32_e32 v62, v21, v44
	v_mul_f32_e32 v21, v21, v43
	v_add_u32_e32 v61, 0x1000, v77
	v_fmac_f32_e32 v62, v20, v43
	v_fma_f32 v20, v20, v44, -v21
	s_waitcnt lgkmcnt(2)
	v_mul_f32_e32 v21, v23, v46
	v_mul_f32_e32 v23, v23, v45
	ds_read2_b64 v[57:60], v61 offset0:112 offset1:190
	ds_read_b64 v[36:37], v77 offset:6240
	v_fmac_f32_e32 v21, v22, v45
	v_fma_f32 v22, v22, v46, -v23
	v_mul_f32_e32 v23, v17, v48
	v_mul_f32_e32 v17, v17, v47
	v_fmac_f32_e32 v23, v16, v47
	v_fma_f32 v43, v16, v48, -v17
	s_waitcnt lgkmcnt(3)
	v_mul_f32_e32 v44, v19, v50
	v_mul_f32_e32 v16, v19, v49
	;; [unrolled: 1-line block ×4, first 2 shown]
	v_fmac_f32_e32 v19, v12, v51
	v_fma_f32 v12, v12, v52, -v13
	s_waitcnt lgkmcnt(2)
	v_mul_f32_e32 v13, v15, v54
	v_mul_f32_e32 v15, v15, v53
	v_fmac_f32_e32 v13, v14, v53
	v_fma_f32 v14, v14, v54, -v15
	v_mul_f32_e32 v15, v5, v56
	v_mul_f32_e32 v5, v5, v55
	v_fmac_f32_e32 v15, v4, v55
	v_fma_f32 v4, v4, v56, -v5
	s_waitcnt lgkmcnt(1)
	v_mul_f32_e32 v5, v7, v58
	v_mul_f32_e32 v7, v7, v57
	v_fmac_f32_e32 v44, v18, v49
	v_fma_f32 v18, v18, v50, -v16
	v_fmac_f32_e32 v5, v6, v57
	v_fma_f32 v6, v6, v58, -v7
	v_mul_f32_e32 v7, v25, v60
	v_mul_f32_e32 v16, v25, v59
	v_fmac_f32_e32 v7, v24, v59
	v_fma_f32 v24, v24, v60, -v16
	s_waitcnt lgkmcnt(0)
	v_mul_f32_e32 v25, v27, v37
	v_mul_f32_e32 v16, v27, v36
	v_add_f32_e32 v17, v42, v20
	v_fmac_f32_e32 v25, v26, v36
	v_fma_f32 v26, v26, v37, -v16
	v_add_f32_e32 v16, v41, v62
	v_add_f32_e32 v17, v17, v22
	;; [unrolled: 1-line block ×17, first 2 shown]
	v_sub_f32_e32 v20, v20, v26
	v_add_f32_e32 v16, v16, v7
	v_add_f32_e32 v17, v17, v26
	v_mul_f32_e32 v26, 0xbf0a6770, v20
	v_mul_f32_e32 v47, 0xbf68dda4, v20
	;; [unrolled: 1-line block ×5, first 2 shown]
	v_add_f32_e32 v16, v16, v25
	v_add_f32_e32 v27, v62, v25
	v_sub_f32_e32 v25, v62, v25
	s_mov_b32 s14, 0x3f575c64
	v_mov_b32_e32 v37, v26
	v_mul_f32_e32 v45, 0x3f575c64, v36
	s_mov_b32 s4, 0x3ed4b147
	v_mov_b32_e32 v48, v47
	v_mul_f32_e32 v49, 0x3ed4b147, v36
	;; [unrolled: 3-line block ×5, first 2 shown]
	v_fmac_f32_e32 v37, 0x3f575c64, v27
	v_mov_b32_e32 v46, v45
	v_fma_f32 v26, v27, s14, -v26
	v_fmac_f32_e32 v48, 0x3ed4b147, v27
	v_mov_b32_e32 v50, v49
	v_fma_f32 v47, v27, s4, -v47
	;; [unrolled: 3-line block ×5, first 2 shown]
	v_fmac_f32_e32 v36, 0xbe903f40, v25
	v_add_f32_e32 v27, v21, v7
	v_sub_f32_e32 v7, v21, v7
	v_sub_f32_e32 v21, v22, v24
	v_fmac_f32_e32 v46, 0x3f0a6770, v25
	v_fmac_f32_e32 v45, 0xbf0a6770, v25
	;; [unrolled: 1-line block ×9, first 2 shown]
	v_add_f32_e32 v25, v42, v36
	v_add_f32_e32 v36, v22, v24
	v_mul_f32_e32 v22, 0xbf68dda4, v21
	v_mov_b32_e32 v24, v22
	v_add_f32_e32 v37, v41, v37
	v_fmac_f32_e32 v24, 0x3ed4b147, v27
	v_add_f32_e32 v24, v24, v37
	v_mul_f32_e32 v37, 0x3ed4b147, v36
	v_add_f32_e32 v26, v41, v26
	v_add_f32_e32 v45, v42, v45
	;; [unrolled: 1-line block ×10, first 2 shown]
	v_mov_b32_e32 v41, v37
	v_fma_f32 v22, v27, s4, -v22
	v_fmac_f32_e32 v37, 0xbf68dda4, v7
	v_add_f32_e32 v22, v22, v26
	v_add_f32_e32 v26, v37, v45
	v_mul_f32_e32 v37, 0xbf4178ce, v21
	v_add_f32_e32 v46, v42, v46
	v_add_f32_e32 v50, v42, v50
	;; [unrolled: 1-line block ×8, first 2 shown]
	v_mov_b32_e32 v42, v37
	v_fma_f32 v37, v27, s15, -v37
	v_fmac_f32_e32 v41, 0x3f68dda4, v7
	v_fmac_f32_e32 v42, 0xbf27a4f4, v27
	v_mul_f32_e32 v45, 0xbf27a4f4, v36
	v_add_f32_e32 v37, v37, v47
	v_mul_f32_e32 v47, 0x3e903f40, v21
	v_add_f32_e32 v41, v41, v46
	v_add_f32_e32 v42, v42, v48
	v_mov_b32_e32 v46, v45
	v_fmac_f32_e32 v45, 0xbf4178ce, v7
	v_mov_b32_e32 v48, v47
	v_fma_f32 v47, v27, s16, -v47
	v_fmac_f32_e32 v46, 0x3f4178ce, v7
	v_add_f32_e32 v45, v45, v49
	v_fmac_f32_e32 v48, 0xbf75a155, v27
	v_mul_f32_e32 v49, 0xbf75a155, v36
	v_add_f32_e32 v47, v47, v51
	v_mul_f32_e32 v51, 0x3f7d64f0, v21
	v_add_f32_e32 v46, v46, v50
	v_add_f32_e32 v48, v48, v52
	v_mov_b32_e32 v50, v49
	v_fmac_f32_e32 v49, 0x3e903f40, v7
	v_mov_b32_e32 v52, v51
	v_fmac_f32_e32 v50, 0xbe903f40, v7
	v_add_f32_e32 v49, v49, v53
	v_fmac_f32_e32 v52, 0xbe11bafb, v27
	v_mul_f32_e32 v53, 0xbe11bafb, v36
	v_mul_f32_e32 v36, 0x3f575c64, v36
	v_add_f32_e32 v50, v50, v54
	v_add_f32_e32 v52, v52, v56
	v_mov_b32_e32 v54, v53
	v_fma_f32 v51, v27, s5, -v51
	v_mul_f32_e32 v21, 0x3f0a6770, v21
	v_mov_b32_e32 v56, v36
	v_fmac_f32_e32 v36, 0x3f0a6770, v7
	v_fmac_f32_e32 v54, 0xbf7d64f0, v7
	v_add_f32_e32 v51, v51, v55
	v_fmac_f32_e32 v53, 0x3f7d64f0, v7
	v_mov_b32_e32 v55, v21
	v_fmac_f32_e32 v56, 0xbf0a6770, v7
	v_fma_f32 v21, v27, s14, -v21
	v_add_f32_e32 v7, v36, v25
	v_add_f32_e32 v25, v43, v6
	v_sub_f32_e32 v6, v43, v6
	v_add_f32_e32 v20, v21, v20
	v_add_f32_e32 v21, v23, v5
	v_sub_f32_e32 v5, v23, v5
	v_mul_f32_e32 v23, 0xbf7d64f0, v6
	v_fmac_f32_e32 v55, 0x3f575c64, v27
	v_mov_b32_e32 v27, v23
	v_fmac_f32_e32 v27, 0xbe11bafb, v21
	v_add_f32_e32 v24, v27, v24
	v_mul_f32_e32 v27, 0xbe11bafb, v25
	v_mov_b32_e32 v36, v27
	v_fma_f32 v23, v21, s5, -v23
	v_fmac_f32_e32 v27, 0xbf7d64f0, v5
	v_add_f32_e32 v22, v23, v22
	v_add_f32_e32 v23, v27, v26
	v_mul_f32_e32 v26, 0x3e903f40, v6
	v_fmac_f32_e32 v36, 0x3f7d64f0, v5
	v_mov_b32_e32 v27, v26
	v_add_f32_e32 v36, v36, v41
	v_fmac_f32_e32 v27, 0xbf75a155, v21
	v_mul_f32_e32 v41, 0xbf75a155, v25
	v_add_f32_e32 v27, v27, v42
	v_mov_b32_e32 v42, v41
	v_fma_f32 v26, v21, s16, -v26
	v_fmac_f32_e32 v41, 0x3e903f40, v5
	v_add_f32_e32 v26, v26, v37
	v_add_f32_e32 v37, v41, v45
	v_mul_f32_e32 v41, 0x3f68dda4, v6
	v_mov_b32_e32 v43, v41
	v_fma_f32 v41, v21, s4, -v41
	v_fmac_f32_e32 v43, 0x3ed4b147, v21
	v_add_f32_e32 v41, v41, v47
	v_mul_f32_e32 v47, 0xbf0a6770, v6
	v_fmac_f32_e32 v42, 0xbe903f40, v5
	v_add_f32_e32 v43, v43, v48
	v_mul_f32_e32 v45, 0x3ed4b147, v25
	v_mov_b32_e32 v48, v47
	v_fma_f32 v47, v21, s14, -v47
	v_mul_f32_e32 v6, 0xbf4178ce, v6
	v_add_f32_e32 v42, v42, v46
	v_mov_b32_e32 v46, v45
	v_fmac_f32_e32 v45, 0x3f68dda4, v5
	v_add_f32_e32 v47, v47, v51
	v_mov_b32_e32 v51, v6
	v_fma_f32 v6, v21, s15, -v6
	v_fmac_f32_e32 v46, 0xbf68dda4, v5
	v_add_f32_e32 v45, v45, v49
	v_fmac_f32_e32 v48, 0x3f575c64, v21
	v_mul_f32_e32 v49, 0x3f575c64, v25
	v_mul_f32_e32 v25, 0xbf27a4f4, v25
	v_add_f32_e32 v6, v6, v20
	v_add_f32_e32 v20, v18, v4
	v_sub_f32_e32 v4, v18, v4
	v_add_f32_e32 v46, v46, v50
	v_add_f32_e32 v48, v48, v52
	v_mov_b32_e32 v50, v49
	v_mov_b32_e32 v52, v25
	v_fmac_f32_e32 v25, 0xbf4178ce, v5
	v_mul_f32_e32 v18, 0xbf4178ce, v4
	v_fmac_f32_e32 v50, 0x3f0a6770, v5
	v_fmac_f32_e32 v49, 0xbf0a6770, v5
	;; [unrolled: 1-line block ×4, first 2 shown]
	v_add_f32_e32 v5, v25, v7
	v_add_f32_e32 v7, v44, v15
	v_mov_b32_e32 v21, v18
	v_fmac_f32_e32 v21, 0xbf27a4f4, v7
	v_sub_f32_e32 v15, v44, v15
	v_add_f32_e32 v21, v21, v24
	v_mul_f32_e32 v24, 0xbf27a4f4, v20
	v_fma_f32 v18, v7, s15, -v18
	v_mov_b32_e32 v25, v24
	v_add_f32_e32 v22, v18, v22
	v_fmac_f32_e32 v24, 0xbf4178ce, v15
	v_mul_f32_e32 v18, 0x3f7d64f0, v4
	v_add_f32_e32 v23, v24, v23
	v_mov_b32_e32 v24, v18
	v_fmac_f32_e32 v24, 0xbe11bafb, v7
	v_fmac_f32_e32 v25, 0x3f4178ce, v15
	v_add_f32_e32 v24, v24, v27
	v_mul_f32_e32 v27, 0xbe11bafb, v20
	v_add_f32_e32 v25, v25, v36
	v_mov_b32_e32 v36, v27
	v_fma_f32 v18, v7, s5, -v18
	v_fmac_f32_e32 v36, 0xbf7d64f0, v15
	v_add_f32_e32 v26, v18, v26
	v_mul_f32_e32 v18, 0xbf0a6770, v4
	v_add_f32_e32 v42, v36, v42
	v_mov_b32_e32 v36, v18
	v_fmac_f32_e32 v36, 0x3f575c64, v7
	v_fmac_f32_e32 v27, 0x3f7d64f0, v15
	v_add_f32_e32 v43, v36, v43
	v_mul_f32_e32 v36, 0x3f575c64, v20
	v_fma_f32 v18, v7, s14, -v18
	v_add_f32_e32 v27, v27, v37
	v_mov_b32_e32 v37, v36
	v_add_f32_e32 v41, v18, v41
	v_fmac_f32_e32 v36, 0xbf0a6770, v15
	v_mul_f32_e32 v18, 0xbe903f40, v4
	v_add_f32_e32 v45, v36, v45
	v_mov_b32_e32 v36, v18
	v_fmac_f32_e32 v37, 0x3f0a6770, v15
	v_fmac_f32_e32 v36, 0xbf75a155, v7
	v_add_f32_e32 v44, v37, v46
	v_add_f32_e32 v46, v36, v48
	v_mul_f32_e32 v36, 0xbf75a155, v20
	v_fma_f32 v18, v7, s16, -v18
	v_mul_f32_e32 v4, 0x3f68dda4, v4
	v_add_f32_e32 v54, v54, v58
	v_add_f32_e32 v55, v55, v59
	v_mov_b32_e32 v37, v36
	v_add_f32_e32 v47, v18, v47
	v_mov_b32_e32 v18, v4
	v_add_f32_e32 v50, v50, v54
	v_add_f32_e32 v51, v51, v55
	v_fmac_f32_e32 v37, 0x3e903f40, v15
	v_fmac_f32_e32 v18, 0x3ed4b147, v7
	v_add_f32_e32 v48, v37, v50
	v_add_f32_e32 v50, v18, v51
	v_mul_f32_e32 v18, 0x3ed4b147, v20
	v_add_f32_e32 v56, v56, v60
	v_mov_b32_e32 v20, v18
	v_fma_f32 v4, v7, s4, -v4
	v_sub_f32_e32 v55, v12, v14
	v_add_f32_e32 v52, v52, v56
	v_fmac_f32_e32 v20, 0xbf68dda4, v15
	v_add_f32_e32 v4, v4, v6
	v_mul_f32_e32 v6, 0xbe903f40, v55
	v_add_f32_e32 v53, v53, v57
	v_add_f32_e32 v51, v20, v52
	;; [unrolled: 1-line block ×3, first 2 shown]
	v_mov_b32_e32 v7, v6
	v_add_f32_e32 v49, v49, v53
	v_fmac_f32_e32 v18, 0x3f68dda4, v15
	v_add_f32_e32 v53, v12, v14
	v_fmac_f32_e32 v7, 0xbf75a155, v52
	v_fmac_f32_e32 v36, 0xbe903f40, v15
	v_add_f32_e32 v5, v18, v5
	v_sub_f32_e32 v54, v19, v13
	v_add_f32_e32 v18, v7, v21
	v_mul_f32_e32 v7, 0xbf75a155, v53
	v_fma_f32 v6, v52, s16, -v6
	v_add_f32_e32 v49, v36, v49
	v_mov_b32_e32 v12, v7
	v_add_f32_e32 v36, v6, v22
	v_fmac_f32_e32 v7, 0xbe903f40, v54
	v_mul_f32_e32 v6, 0x3f0a6770, v55
	v_add_f32_e32 v37, v7, v23
	v_mov_b32_e32 v7, v6
	v_fmac_f32_e32 v7, 0x3f575c64, v52
	v_fmac_f32_e32 v12, 0x3e903f40, v54
	v_add_f32_e32 v20, v7, v24
	v_mul_f32_e32 v7, 0x3f575c64, v53
	v_fma_f32 v6, v52, s14, -v6
	v_add_f32_e32 v19, v12, v25
	v_mov_b32_e32 v12, v7
	v_add_f32_e32 v14, v6, v26
	v_fmac_f32_e32 v7, 0x3f0a6770, v54
	v_mul_f32_e32 v6, 0xbf4178ce, v55
	v_add_f32_e32 v15, v7, v27
	v_mov_b32_e32 v7, v6
	v_fmac_f32_e32 v7, 0xbf27a4f4, v52
	v_fmac_f32_e32 v12, 0xbf0a6770, v54
	v_add_f32_e32 v22, v7, v43
	v_mul_f32_e32 v7, 0xbf27a4f4, v53
	v_add_f32_e32 v21, v12, v42
	v_mov_b32_e32 v12, v7
	v_fmac_f32_e32 v12, 0x3f4178ce, v54
	v_fma_f32 v6, v52, s15, -v6
	v_add_f32_e32 v23, v12, v44
	v_add_f32_e32 v12, v6, v41
	v_fmac_f32_e32 v7, 0xbf4178ce, v54
	v_mul_f32_e32 v6, 0x3f68dda4, v55
	v_add_f32_e32 v13, v7, v45
	v_mov_b32_e32 v7, v6
	v_fmac_f32_e32 v7, 0x3ed4b147, v52
	v_add_f32_e32 v24, v7, v46
	v_mul_f32_e32 v7, 0x3ed4b147, v53
	v_mul_f32_e32 v41, 0xbf7d64f0, v55
	;; [unrolled: 1-line block ×3, first 2 shown]
	v_mov_b32_e32 v25, v7
	v_mov_b32_e32 v26, v41
	;; [unrolled: 1-line block ×3, first 2 shown]
	v_fmac_f32_e32 v25, 0xbf68dda4, v54
	v_fmac_f32_e32 v26, 0xbe11bafb, v52
	;; [unrolled: 1-line block ×3, first 2 shown]
	v_add_f32_e32 v25, v25, v48
	v_fma_f32 v6, v52, s4, -v6
	v_fmac_f32_e32 v7, 0x3f68dda4, v54
	v_add_f32_e32 v26, v26, v50
	v_add_f32_e32 v27, v27, v51
	v_fma_f32 v41, v52, s5, -v41
	v_fmac_f32_e32 v42, 0xbf7d64f0, v54
	v_add_f32_e32 v6, v6, v47
	v_add_f32_e32 v7, v7, v49
	;; [unrolled: 1-line block ×4, first 2 shown]
	s_barrier
	ds_write2_b64 v78, v[16:17], v[18:19] offset1:13
	ds_write2_b64 v78, v[20:21], v[22:23] offset0:26 offset1:39
	ds_write2_b64 v78, v[24:25], v[26:27] offset0:52 offset1:65
	ds_write2_b64 v78, v[4:5], v[6:7] offset0:78 offset1:91
	ds_write2_b64 v78, v[12:13], v[14:15] offset0:104 offset1:117
	ds_write_b64 v78, v[36:37] offset:1040
	s_waitcnt lgkmcnt(0)
	s_barrier
	ds_read2_b64 v[16:19], v77 offset1:143
	ds_read2_b64 v[24:27], v40 offset0:30 offset1:173
	ds_read2_b64 v[20:23], v61 offset0:60 offset1:203
	s_and_saveexec_b64 s[4:5], s[2:3]
	s_cbranch_execz .LBB0_19
; %bb.18:
	v_add_u32_e32 v36, 0x1400, v77
	ds_read2_b64 v[4:7], v77 offset0:78 offset1:221
	ds_read2_b64 v[12:15], v40 offset0:108 offset1:251
	;; [unrolled: 1-line block ×3, first 2 shown]
.LBB0_19:
	s_or_b64 exec, exec, s[4:5]
	s_waitcnt lgkmcnt(2)
	v_mul_f32_e32 v40, v33, v19
	v_fmac_f32_e32 v40, v32, v18
	v_mul_f32_e32 v18, v33, v18
	v_fma_f32 v32, v32, v19, -v18
	s_waitcnt lgkmcnt(1)
	v_mul_f32_e32 v18, v35, v25
	v_fmac_f32_e32 v18, v34, v24
	v_mul_f32_e32 v19, v35, v24
	v_mul_f32_e32 v24, v29, v27
	v_fma_f32 v19, v34, v25, -v19
	v_fmac_f32_e32 v24, v28, v26
	v_mul_f32_e32 v25, v29, v26
	s_waitcnt lgkmcnt(0)
	v_mul_f32_e32 v26, v31, v21
	v_fmac_f32_e32 v26, v30, v20
	v_mul_f32_e32 v20, v31, v20
	v_fma_f32 v25, v28, v27, -v25
	v_fma_f32 v20, v30, v21, -v20
	v_mul_f32_e32 v21, v72, v23
	v_add_f32_e32 v27, v18, v26
	v_fmac_f32_e32 v21, v71, v22
	v_mul_f32_e32 v22, v72, v22
	v_fma_f32 v27, -0.5, v27, v16
	v_fma_f32 v22, v71, v23, -v22
	v_add_f32_e32 v23, v16, v18
	v_sub_f32_e32 v16, v19, v20
	v_mov_b32_e32 v28, v27
	v_fmac_f32_e32 v28, 0xbf5db3d7, v16
	v_fmac_f32_e32 v27, 0x3f5db3d7, v16
	v_add_f32_e32 v16, v17, v19
	v_add_f32_e32 v29, v16, v20
	;; [unrolled: 1-line block ×3, first 2 shown]
	v_fma_f32 v30, -0.5, v16, v17
	v_sub_f32_e32 v16, v18, v26
	v_mov_b32_e32 v31, v30
	v_fmac_f32_e32 v31, 0x3f5db3d7, v16
	v_fmac_f32_e32 v30, 0xbf5db3d7, v16
	v_add_f32_e32 v16, v40, v24
	v_add_f32_e32 v23, v23, v26
	;; [unrolled: 1-line block ×4, first 2 shown]
	v_fmac_f32_e32 v40, -0.5, v16
	v_sub_f32_e32 v16, v25, v22
	v_mov_b32_e32 v19, v40
	v_fmac_f32_e32 v19, 0xbf5db3d7, v16
	v_fmac_f32_e32 v40, 0x3f5db3d7, v16
	v_add_f32_e32 v16, v32, v25
	v_add_f32_e32 v33, v16, v22
	;; [unrolled: 1-line block ×3, first 2 shown]
	v_fmac_f32_e32 v32, -0.5, v16
	v_sub_f32_e32 v16, v24, v21
	v_mov_b32_e32 v21, v32
	v_fmac_f32_e32 v21, 0x3f5db3d7, v16
	v_fmac_f32_e32 v32, 0xbf5db3d7, v16
	v_mul_f32_e32 v24, 0xbf5db3d7, v21
	v_mul_f32_e32 v34, 0.5, v21
	v_fmac_f32_e32 v24, 0.5, v19
	v_mul_f32_e32 v25, 0xbf5db3d7, v32
	v_fmac_f32_e32 v34, 0x3f5db3d7, v19
	v_mul_f32_e32 v32, -0.5, v32
	v_add_f32_e32 v16, v23, v26
	v_add_f32_e32 v18, v28, v24
	v_fmac_f32_e32 v25, -0.5, v40
	v_add_f32_e32 v17, v29, v33
	v_add_f32_e32 v19, v31, v34
	v_fmac_f32_e32 v32, 0x3f5db3d7, v40
	v_add_f32_e32 v20, v27, v25
	v_add_f32_e32 v21, v30, v32
	v_sub_f32_e32 v22, v23, v26
	v_sub_f32_e32 v23, v29, v33
	ds_write2_b64 v64, v[16:17], v[18:19] offset1:143
	v_add_u32_e32 v16, 0x800, v64
	v_sub_f32_e32 v24, v28, v24
	v_sub_f32_e32 v26, v27, v25
	;; [unrolled: 1-line block ×4, first 2 shown]
	ds_write2_b64 v16, v[20:21], v[22:23] offset0:30 offset1:173
	v_add_u32_e32 v16, 0x1000, v64
	ds_write2_b64 v16, v[24:25], v[26:27] offset0:60 offset1:203
	s_and_saveexec_b64 s[4:5], s[2:3]
	s_cbranch_execz .LBB0_21
; %bb.20:
	v_mul_f32_e32 v16, v3, v12
	v_fma_f32 v16, v2, v13, -v16
	v_mul_f32_e32 v13, v3, v13
	v_mul_f32_e32 v19, v9, v15
	;; [unrolled: 1-line block ×3, first 2 shown]
	v_fmac_f32_e32 v13, v2, v12
	v_mul_f32_e32 v12, v1, v7
	v_fmac_f32_e32 v19, v8, v14
	v_fmac_f32_e32 v20, v69, v38
	;; [unrolled: 1-line block ×3, first 2 shown]
	v_add_f32_e32 v3, v19, v20
	v_fma_f32 v21, -0.5, v3, v12
	v_mul_f32_e32 v3, v9, v14
	v_fma_f32 v8, v8, v15, -v3
	v_mul_f32_e32 v3, v70, v38
	v_mul_f32_e32 v17, v11, v36
	v_fma_f32 v9, v69, v39, -v3
	v_mul_f32_e32 v1, v1, v6
	v_fma_f32 v17, v10, v37, -v17
	v_fma_f32 v0, v0, v7, -v1
	v_add_f32_e32 v1, v8, v9
	v_add_f32_e32 v18, v16, v17
	v_mul_f32_e32 v11, v11, v37
	v_fma_f32 v6, -0.5, v1, v0
	v_fma_f32 v18, -0.5, v18, v5
	v_fmac_f32_e32 v11, v10, v36
	v_sub_f32_e32 v7, v19, v20
	v_mov_b32_e32 v15, v6
	v_add_f32_e32 v0, v0, v8
	v_sub_f32_e32 v2, v13, v11
	v_mov_b32_e32 v10, v18
	v_sub_f32_e32 v3, v8, v9
	v_mov_b32_e32 v14, v21
	v_fmac_f32_e32 v15, 0xbf5db3d7, v7
	v_add_f32_e32 v8, v0, v9
	v_add_f32_e32 v0, v13, v11
	v_fmac_f32_e32 v10, 0xbf5db3d7, v2
	v_fmac_f32_e32 v14, 0x3f5db3d7, v3
	v_mul_f32_e32 v22, -0.5, v15
	v_fmac_f32_e32 v18, 0x3f5db3d7, v2
	v_fmac_f32_e32 v6, 0x3f5db3d7, v7
	v_add_f32_e32 v2, v16, v5
	v_fma_f32 v25, -0.5, v0, v4
	v_mul_f32_e32 v15, 0xbf5db3d7, v15
	v_add_f32_e32 v4, v13, v4
	v_fmac_f32_e32 v22, 0x3f5db3d7, v14
	v_fmac_f32_e32 v21, 0xbf5db3d7, v3
	v_mul_f32_e32 v23, 0.5, v6
	v_add_f32_e32 v24, v17, v2
	v_sub_f32_e32 v2, v16, v17
	v_fmac_f32_e32 v15, -0.5, v14
	v_mul_f32_e32 v14, 0xbf5db3d7, v6
	v_add_f32_e32 v13, v11, v4
	v_add_f32_e32 v4, v12, v19
	v_fmac_f32_e32 v23, 0x3f5db3d7, v21
	v_mov_b32_e32 v16, v25
	v_fmac_f32_e32 v25, 0xbf5db3d7, v2
	v_fmac_f32_e32 v14, 0.5, v21
	v_add_f32_e32 v12, v4, v20
	v_sub_f32_e32 v1, v10, v22
	v_sub_f32_e32 v5, v24, v8
	v_fmac_f32_e32 v16, 0x3f5db3d7, v2
	v_add_f32_e32 v7, v10, v22
	v_add_f32_e32 v9, v18, v23
	v_add_f32_e32 v11, v8, v24
	v_add_f32_e32 v8, v25, v14
	v_add_f32_e32 v10, v13, v12
	v_sub_f32_e32 v4, v13, v12
	v_add_f32_e32 v6, v16, v15
	ds_write2_b64 v64, v[10:11], v[8:9] offset0:78 offset1:221
	v_add_u32_e32 v8, 0x800, v64
	v_sub_f32_e32 v3, v18, v23
	v_sub_f32_e32 v0, v16, v15
	;; [unrolled: 1-line block ×3, first 2 shown]
	ds_write2_b64 v8, v[6:7], v[4:5] offset0:108 offset1:251
	v_add_u32_e32 v4, 0x1400, v64
	ds_write2_b64 v4, v[2:3], v[0:1] offset0:10 offset1:153
.LBB0_21:
	s_or_b64 exec, exec, s[4:5]
	s_waitcnt lgkmcnt(0)
	s_barrier
	s_and_b64 exec, exec, s[0:1]
	s_cbranch_execz .LBB0_23
; %bb.22:
	global_load_dwordx2 v[8:9], v74, s[12:13]
	global_load_dwordx2 v[10:11], v74, s[12:13] offset:528
	global_load_dwordx2 v[12:13], v74, s[12:13] offset:1056
	;; [unrolled: 1-line block ×3, first 2 shown]
	ds_read_b64 v[18:19], v64
	ds_read2_b64 v[0:3], v64 offset0:66 offset1:132
	global_load_dwordx2 v[22:23], v74, s[12:13] offset:2112
	global_load_dwordx2 v[24:25], v74, s[12:13] offset:2640
	;; [unrolled: 1-line block ×4, first 2 shown]
	v_mad_u64_u32 v[16:17], s[0:1], s10, v66, 0
	v_mad_u64_u32 v[20:21], s[2:3], s8, v73, 0
	s_mul_i32 s3, s9, 0x210
	s_mul_hi_u32 s4, s8, 0x210
	s_add_i32 s3, s4, s3
	s_waitcnt lgkmcnt(1)
	v_mad_u64_u32 v[30:31], s[4:5], s11, v66, v[17:18]
	v_mov_b32_e32 v4, s13
	v_add_co_u32_e32 v33, vcc, s12, v74
	v_mov_b32_e32 v36, s7
	s_movk_i32 s7, 0x1000
	v_addc_co_u32_e32 v34, vcc, 0, v4, vcc
	v_mov_b32_e32 v17, v30
	v_lshlrev_b64 v[16:17], 3, v[16:17]
	v_add_u32_e32 v5, 0x400, v64
	ds_read2_b64 v[4:7], v5 offset0:70 offset1:136
	s_mul_i32 s2, s8, 0x210
	v_mov_b32_e32 v37, s3
	s_mov_b32 s0, 0x58e9ebb6
	s_mov_b32 s1, 0x3f531877
	v_mov_b32_e32 v38, s3
	s_waitcnt vmcnt(7)
	v_mul_f32_e32 v30, v19, v9
	v_mul_f32_e32 v9, v18, v9
	v_fmac_f32_e32 v30, v18, v8
	s_waitcnt vmcnt(3)
	v_mad_u64_u32 v[31:32], s[4:5], s9, v73, v[21:22]
	v_add_co_u32_e32 v32, vcc, s7, v33
	v_addc_co_u32_e32 v33, vcc, 0, v34, vcc
	v_mov_b32_e32 v21, v31
	v_lshlrev_b64 v[20:21], 3, v[20:21]
	v_add_co_u32_e32 v16, vcc, s6, v16
	v_addc_co_u32_e32 v17, vcc, v36, v17, vcc
	v_add_co_u32_e32 v16, vcc, v16, v20
	v_addc_co_u32_e32 v17, vcc, v17, v21, vcc
	v_add_co_u32_e32 v20, vcc, s2, v16
	s_waitcnt lgkmcnt(1)
	v_mul_f32_e32 v31, v1, v11
	v_mul_f32_e32 v11, v0, v11
	;; [unrolled: 1-line block ×4, first 2 shown]
	v_fma_f32 v8, v8, v19, -v9
	v_addc_co_u32_e32 v21, vcc, v17, v37, vcc
	s_waitcnt lgkmcnt(0)
	v_mul_f32_e32 v37, v5, v15
	v_mul_f32_e32 v15, v4, v15
	v_fmac_f32_e32 v31, v0, v10
	v_fma_f32 v9, v10, v1, -v11
	v_fmac_f32_e32 v36, v2, v12
	v_fma_f32 v12, v12, v3, -v13
	v_cvt_f64_f32_e32 v[0:1], v30
	v_cvt_f64_f32_e32 v[2:3], v8
	v_fmac_f32_e32 v37, v4, v14
	v_fma_f32 v18, v14, v5, -v15
	v_cvt_f64_f32_e32 v[4:5], v31
	v_cvt_f64_f32_e32 v[8:9], v9
	v_mul_f64 v[0:1], v[0:1], s[0:1]
	v_mul_f64 v[2:3], v[2:3], s[0:1]
	;; [unrolled: 1-line block ×4, first 2 shown]
	v_cvt_f64_f32_e32 v[10:11], v36
	v_cvt_f64_f32_e32 v[12:13], v12
	global_load_dwordx2 v[34:35], v[32:33], off offset:128
	v_cvt_f64_f32_e32 v[14:15], v37
	v_cvt_f32_f64_e32 v0, v[0:1]
	v_cvt_f32_f64_e32 v1, v[2:3]
	;; [unrolled: 1-line block ×4, first 2 shown]
	v_cvt_f64_f32_e32 v[18:19], v18
	v_mul_f64 v[10:11], v[10:11], s[0:1]
	v_mul_f64 v[12:13], v[12:13], s[0:1]
	global_store_dwordx2 v[16:17], v[0:1], off
	global_store_dwordx2 v[20:21], v[2:3], off
	v_mul_f32_e32 v0, v7, v23
	v_fmac_f32_e32 v0, v6, v22
	v_mul_f64 v[14:15], v[14:15], s[0:1]
	v_mul_f64 v[18:19], v[18:19], s[0:1]
	v_cvt_f64_f32_e32 v[0:1], v0
	v_cvt_f32_f64_e32 v4, v[10:11]
	v_cvt_f32_f64_e32 v5, v[12:13]
	v_add_co_u32_e32 v8, vcc, s2, v20
	v_mul_f64 v[10:11], v[0:1], s[0:1]
	v_mul_f32_e32 v0, v6, v23
	v_fma_f32 v0, v22, v7, -v0
	global_load_dwordx2 v[6:7], v[32:33], off offset:656
	v_addc_co_u32_e32 v9, vcc, v21, v38, vcc
	global_store_dwordx2 v[8:9], v[4:5], off
	v_cvt_f32_f64_e32 v4, v[14:15]
	v_cvt_f32_f64_e32 v5, v[18:19]
	v_cvt_f64_f32_e32 v[12:13], v0
	v_add_u32_e32 v0, 0x800, v64
	ds_read2_b64 v[0:3], v0 offset0:74 offset1:140
	v_mov_b32_e32 v14, s3
	v_add_co_u32_e32 v8, vcc, s2, v8
	v_addc_co_u32_e32 v9, vcc, v9, v14, vcc
	global_store_dwordx2 v[8:9], v[4:5], off
	v_mul_f64 v[4:5], v[12:13], s[0:1]
	v_cvt_f32_f64_e32 v10, v[10:11]
	s_waitcnt vmcnt(8) lgkmcnt(0)
	v_mul_f32_e32 v11, v1, v25
	v_fmac_f32_e32 v11, v0, v24
	v_cvt_f64_f32_e32 v[12:13], v11
	v_add_co_u32_e32 v8, vcc, s2, v8
	v_addc_co_u32_e32 v9, vcc, v9, v14, vcc
	v_cvt_f32_f64_e32 v11, v[4:5]
	v_mul_f64 v[4:5], v[12:13], s[0:1]
	global_load_dwordx2 v[12:13], v[32:33], off offset:1184
	global_load_dwordx2 v[14:15], v[32:33], off offset:1712
	v_mul_f32_e32 v0, v0, v25
	v_fma_f32 v0, v24, v1, -v0
	v_cvt_f64_f32_e32 v[0:1], v0
	global_store_dwordx2 v[8:9], v[10:11], off
	v_mov_b32_e32 v18, s3
	v_cvt_f32_f64_e32 v4, v[4:5]
	v_mul_f64 v[0:1], v[0:1], s[0:1]
	v_add_co_u32_e32 v8, vcc, s2, v8
	v_addc_co_u32_e32 v9, vcc, v9, v18, vcc
	v_cvt_f32_f64_e32 v5, v[0:1]
	s_waitcnt vmcnt(10)
	v_mul_f32_e32 v0, v3, v27
	v_fmac_f32_e32 v0, v2, v26
	v_cvt_f64_f32_e32 v[10:11], v0
	v_mul_f32_e32 v0, v2, v27
	v_fma_f32 v0, v26, v3, -v0
	v_cvt_f64_f32_e32 v[16:17], v0
	v_add_u32_e32 v0, 0xc00, v64
	ds_read2_b64 v[0:3], v0 offset0:78 offset1:144
	global_store_dwordx2 v[8:9], v[4:5], off
	v_mul_f64 v[4:5], v[10:11], s[0:1]
	v_mul_f64 v[10:11], v[16:17], s[0:1]
	v_add_co_u32_e32 v8, vcc, s2, v8
	s_waitcnt vmcnt(10) lgkmcnt(0)
	v_mul_f32_e32 v16, v1, v29
	v_fmac_f32_e32 v16, v0, v28
	v_mul_f32_e32 v0, v0, v29
	v_fma_f32 v0, v28, v1, -v0
	v_cvt_f64_f32_e32 v[0:1], v0
	v_cvt_f64_f32_e32 v[16:17], v16
	v_cvt_f32_f64_e32 v4, v[4:5]
	v_cvt_f32_f64_e32 v5, v[10:11]
	v_mul_f64 v[0:1], v[0:1], s[0:1]
	v_mul_f64 v[10:11], v[16:17], s[0:1]
	v_mov_b32_e32 v16, s3
	v_addc_co_u32_e32 v9, vcc, v9, v16, vcc
	global_store_dwordx2 v[8:9], v[4:5], off
	v_add_co_u32_e32 v8, vcc, s2, v8
	v_cvt_f32_f64_e32 v5, v[0:1]
	s_waitcnt vmcnt(10)
	v_mul_f32_e32 v0, v3, v35
	v_fmac_f32_e32 v0, v2, v34
	v_cvt_f32_f64_e32 v4, v[10:11]
	v_cvt_f64_f32_e32 v[10:11], v0
	v_mul_f32_e32 v0, v2, v35
	v_fma_f32 v0, v34, v3, -v0
	v_cvt_f64_f32_e32 v[16:17], v0
	v_add_u32_e32 v0, 0x1000, v64
	ds_read2_b64 v[0:3], v0 offset0:82 offset1:148
	v_addc_co_u32_e32 v9, vcc, v9, v18, vcc
	global_store_dwordx2 v[8:9], v[4:5], off
	v_mul_f64 v[4:5], v[10:11], s[0:1]
	v_mul_f64 v[10:11], v[16:17], s[0:1]
	s_waitcnt vmcnt(8) lgkmcnt(0)
	v_mul_f32_e32 v16, v1, v7
	v_fmac_f32_e32 v16, v0, v6
	v_mul_f32_e32 v0, v0, v7
	v_fma_f32 v0, v6, v1, -v0
	v_cvt_f64_f32_e32 v[0:1], v0
	v_cvt_f64_f32_e32 v[16:17], v16
	v_cvt_f32_f64_e32 v4, v[4:5]
	v_cvt_f32_f64_e32 v5, v[10:11]
	v_mul_f64 v[0:1], v[0:1], s[0:1]
	v_mul_f64 v[6:7], v[16:17], s[0:1]
	v_mov_b32_e32 v10, s3
	v_add_co_u32_e32 v8, vcc, s2, v8
	v_addc_co_u32_e32 v9, vcc, v9, v10, vcc
	global_store_dwordx2 v[8:9], v[4:5], off
	v_cvt_f32_f64_e32 v5, v[0:1]
	v_cvt_f32_f64_e32 v4, v[6:7]
	v_mov_b32_e32 v16, s3
	s_waitcnt vmcnt(6)
	v_mul_f32_e32 v0, v3, v13
	v_fmac_f32_e32 v0, v2, v12
	v_cvt_f64_f32_e32 v[6:7], v0
	v_mul_f32_e32 v0, v2, v13
	v_fma_f32 v0, v12, v3, -v0
	v_cvt_f64_f32_e32 v[10:11], v0
	v_add_u32_e32 v0, 0x1400, v64
	ds_read2_b64 v[0:3], v0 offset0:86 offset1:152
	v_add_co_u32_e32 v8, vcc, s2, v8
	v_addc_co_u32_e32 v9, vcc, v9, v16, vcc
	global_store_dwordx2 v[8:9], v[4:5], off
	v_mul_f64 v[4:5], v[6:7], s[0:1]
	v_mul_f64 v[6:7], v[10:11], s[0:1]
	s_waitcnt vmcnt(6) lgkmcnt(0)
	v_mul_f32_e32 v10, v1, v15
	v_fmac_f32_e32 v10, v0, v14
	v_mul_f32_e32 v0, v0, v15
	v_fma_f32 v0, v14, v1, -v0
	v_cvt_f64_f32_e32 v[10:11], v10
	v_cvt_f64_f32_e32 v[0:1], v0
	v_cvt_f32_f64_e32 v4, v[4:5]
	v_cvt_f32_f64_e32 v5, v[6:7]
	v_mul_f64 v[6:7], v[10:11], s[0:1]
	v_mul_f64 v[0:1], v[0:1], s[0:1]
	v_mov_b32_e32 v10, s3
	v_add_co_u32_e32 v8, vcc, s2, v8
	v_addc_co_u32_e32 v9, vcc, v9, v10, vcc
	global_store_dwordx2 v[8:9], v[4:5], off
	v_cvt_f32_f64_e32 v4, v[6:7]
	v_cvt_f32_f64_e32 v5, v[0:1]
	v_mov_b32_e32 v1, s3
	v_add_co_u32_e32 v0, vcc, s2, v8
	v_addc_co_u32_e32 v1, vcc, v9, v1, vcc
	global_store_dwordx2 v[0:1], v[4:5], off
	global_load_dwordx2 v[4:5], v[32:33], off offset:2240
	v_add_co_u32_e32 v0, vcc, s2, v0
	s_waitcnt vmcnt(0)
	v_mul_f32_e32 v6, v3, v5
	v_fmac_f32_e32 v6, v2, v4
	v_mul_f32_e32 v2, v2, v5
	v_fma_f32 v2, v4, v3, -v2
	v_cvt_f64_f32_e32 v[6:7], v6
	v_cvt_f64_f32_e32 v[2:3], v2
	v_mul_f64 v[4:5], v[6:7], s[0:1]
	v_mul_f64 v[2:3], v[2:3], s[0:1]
	v_cvt_f32_f64_e32 v4, v[4:5]
	v_cvt_f32_f64_e32 v5, v[2:3]
	v_mov_b32_e32 v2, s3
	v_addc_co_u32_e32 v1, vcc, v1, v2, vcc
	global_store_dwordx2 v[0:1], v[4:5], off
.LBB0_23:
	s_endpgm
	.section	.rodata,"a",@progbits
	.p2align	6, 0x0
	.amdhsa_kernel bluestein_single_fwd_len858_dim1_sp_op_CI_CI
		.amdhsa_group_segment_fixed_size 20592
		.amdhsa_private_segment_fixed_size 0
		.amdhsa_kernarg_size 104
		.amdhsa_user_sgpr_count 6
		.amdhsa_user_sgpr_private_segment_buffer 1
		.amdhsa_user_sgpr_dispatch_ptr 0
		.amdhsa_user_sgpr_queue_ptr 0
		.amdhsa_user_sgpr_kernarg_segment_ptr 1
		.amdhsa_user_sgpr_dispatch_id 0
		.amdhsa_user_sgpr_flat_scratch_init 0
		.amdhsa_user_sgpr_private_segment_size 0
		.amdhsa_uses_dynamic_stack 0
		.amdhsa_system_sgpr_private_segment_wavefront_offset 0
		.amdhsa_system_sgpr_workgroup_id_x 1
		.amdhsa_system_sgpr_workgroup_id_y 0
		.amdhsa_system_sgpr_workgroup_id_z 0
		.amdhsa_system_sgpr_workgroup_info 0
		.amdhsa_system_vgpr_workitem_id 0
		.amdhsa_next_free_vgpr 181
		.amdhsa_next_free_sgpr 20
		.amdhsa_reserve_vcc 1
		.amdhsa_reserve_flat_scratch 0
		.amdhsa_float_round_mode_32 0
		.amdhsa_float_round_mode_16_64 0
		.amdhsa_float_denorm_mode_32 3
		.amdhsa_float_denorm_mode_16_64 3
		.amdhsa_dx10_clamp 1
		.amdhsa_ieee_mode 1
		.amdhsa_fp16_overflow 0
		.amdhsa_exception_fp_ieee_invalid_op 0
		.amdhsa_exception_fp_denorm_src 0
		.amdhsa_exception_fp_ieee_div_zero 0
		.amdhsa_exception_fp_ieee_overflow 0
		.amdhsa_exception_fp_ieee_underflow 0
		.amdhsa_exception_fp_ieee_inexact 0
		.amdhsa_exception_int_div_zero 0
	.end_amdhsa_kernel
	.text
.Lfunc_end0:
	.size	bluestein_single_fwd_len858_dim1_sp_op_CI_CI, .Lfunc_end0-bluestein_single_fwd_len858_dim1_sp_op_CI_CI
                                        ; -- End function
	.section	.AMDGPU.csdata,"",@progbits
; Kernel info:
; codeLenInByte = 15712
; NumSgprs: 24
; NumVgprs: 181
; ScratchSize: 0
; MemoryBound: 0
; FloatMode: 240
; IeeeMode: 1
; LDSByteSize: 20592 bytes/workgroup (compile time only)
; SGPRBlocks: 2
; VGPRBlocks: 45
; NumSGPRsForWavesPerEU: 24
; NumVGPRsForWavesPerEU: 181
; Occupancy: 1
; WaveLimiterHint : 1
; COMPUTE_PGM_RSRC2:SCRATCH_EN: 0
; COMPUTE_PGM_RSRC2:USER_SGPR: 6
; COMPUTE_PGM_RSRC2:TRAP_HANDLER: 0
; COMPUTE_PGM_RSRC2:TGID_X_EN: 1
; COMPUTE_PGM_RSRC2:TGID_Y_EN: 0
; COMPUTE_PGM_RSRC2:TGID_Z_EN: 0
; COMPUTE_PGM_RSRC2:TIDIG_COMP_CNT: 0
	.type	__hip_cuid_50d22874373fcf2b,@object ; @__hip_cuid_50d22874373fcf2b
	.section	.bss,"aw",@nobits
	.globl	__hip_cuid_50d22874373fcf2b
__hip_cuid_50d22874373fcf2b:
	.byte	0                               ; 0x0
	.size	__hip_cuid_50d22874373fcf2b, 1

	.ident	"AMD clang version 19.0.0git (https://github.com/RadeonOpenCompute/llvm-project roc-6.4.0 25133 c7fe45cf4b819c5991fe208aaa96edf142730f1d)"
	.section	".note.GNU-stack","",@progbits
	.addrsig
	.addrsig_sym __hip_cuid_50d22874373fcf2b
	.amdgpu_metadata
---
amdhsa.kernels:
  - .args:
      - .actual_access:  read_only
        .address_space:  global
        .offset:         0
        .size:           8
        .value_kind:     global_buffer
      - .actual_access:  read_only
        .address_space:  global
        .offset:         8
        .size:           8
        .value_kind:     global_buffer
      - .actual_access:  read_only
        .address_space:  global
        .offset:         16
        .size:           8
        .value_kind:     global_buffer
      - .actual_access:  read_only
        .address_space:  global
        .offset:         24
        .size:           8
        .value_kind:     global_buffer
      - .actual_access:  read_only
        .address_space:  global
        .offset:         32
        .size:           8
        .value_kind:     global_buffer
      - .offset:         40
        .size:           8
        .value_kind:     by_value
      - .address_space:  global
        .offset:         48
        .size:           8
        .value_kind:     global_buffer
      - .address_space:  global
        .offset:         56
        .size:           8
        .value_kind:     global_buffer
      - .address_space:  global
        .offset:         64
        .size:           8
        .value_kind:     global_buffer
      - .address_space:  global
        .offset:         72
        .size:           8
        .value_kind:     global_buffer
      - .offset:         80
        .size:           4
        .value_kind:     by_value
      - .address_space:  global
        .offset:         88
        .size:           8
        .value_kind:     global_buffer
      - .address_space:  global
        .offset:         96
        .size:           8
        .value_kind:     global_buffer
    .group_segment_fixed_size: 20592
    .kernarg_segment_align: 8
    .kernarg_segment_size: 104
    .language:       OpenCL C
    .language_version:
      - 2
      - 0
    .max_flat_workgroup_size: 234
    .name:           bluestein_single_fwd_len858_dim1_sp_op_CI_CI
    .private_segment_fixed_size: 0
    .sgpr_count:     24
    .sgpr_spill_count: 0
    .symbol:         bluestein_single_fwd_len858_dim1_sp_op_CI_CI.kd
    .uniform_work_group_size: 1
    .uses_dynamic_stack: false
    .vgpr_count:     181
    .vgpr_spill_count: 0
    .wavefront_size: 64
amdhsa.target:   amdgcn-amd-amdhsa--gfx906
amdhsa.version:
  - 1
  - 2
...

	.end_amdgpu_metadata
